;; amdgpu-corpus repo=ROCm/aiter kind=harvested arch=n/a opt=n/a

/root/src/amdgpu-assembly/repos/ROCm__aiter/hsa/gfx950/f4gemm/f4gemm_bf16_per1x32Fp4_BpreShuffle_160x256.co:	file format elf64-amdgpu

Disassembly of section .text:

0000000000002c00 <_ZN5aiter42f4gemm_bf16_per1x32Fp4_BpreShuffle_160x256E>:
	s_and_b32 s1, s1, 0xffff                                   // 000000002C00: 8601FF01 0000FFFF
	s_load_dwordx2 s[4:5], s[0:1], 0x0                         // 000000002C08: C0060100 00000000
	s_load_dwordx2 s[8:9], s[0:1], 0x10                        // 000000002C10: C0060200 00000010
	s_load_dwordx2 s[12:13], s[0:1], 0x20                      // 000000002C18: C0060300 00000020
	s_load_dwordx2 s[16:17], s[0:1], 0x30                      // 000000002C20: C0060400 00000030
	s_load_dword s41, s[0:1], 0x40                             // 000000002C28: C0020A40 00000040
	s_load_dword s42, s[0:1], 0x50                             // 000000002C30: C0020A80 00000050
	s_load_dword s36, s[0:1], 0x80                             // 000000002C38: C0020900 00000080
	s_load_dword s37, s[0:1], 0xa0                             // 000000002C40: C0020940 000000A0
	s_load_dword s38, s[0:1], 0xc0                             // 000000002C48: C0020980 000000C0
	s_load_dword s43, s[0:1], 0xe0                             // 000000002C50: C0020AC0 000000E0
	s_load_dword s44, s[0:1], 0xf0                             // 000000002C58: C0020B00 000000F0
	s_load_dword s45, s[0:1], 0x100                            // 000000002C60: C0020B40 00000100
	s_load_dwordx2 s[20:21], s[0:1], 0x110                     // 000000002C68: C0060500 00000110
	s_load_dwordx2 s[24:25], s[0:1], 0x120                     // 000000002C70: C0060600 00000120
	s_load_dword s39, s[0:1], 0x130                            // 000000002C78: C00209C0 00000130
	s_load_dword s40, s[0:1], 0x150                            // 000000002C80: C0020A00 00000150
	v_lshrrev_b32_e32 v1, 10, v0                               // 000000002C88: 2002008A
	v_lshrrev_b32_e32 v2, 10, v1                               // 000000002C8C: 2004028A
	v_and_b32_e32 v2, 0x3ff, v2                                // 000000002C90: 260404FF 000003FF
	v_and_b32_e32 v1, 0x3ff, v1                                // 000000002C98: 260202FF 000003FF
	v_and_b32_e32 v0, 0x3ff, v0                                // 000000002CA0: 260000FF 000003FF
	v_lshrrev_b32_e32 v3, 6, v0                                // 000000002CA8: 20060086
	v_and_b32_e32 v0, 63, v0                                   // 000000002CAC: 260000BF
	s_mov_b32 s47, s2                                          // 000000002CB0: BEAF0002
	s_mov_b32 s48, s3                                          // 000000002CB4: BEB00003
	v_readfirstlane_b32 s46, v3                                // 000000002CB8: 7E5C0503
	s_waitcnt lgkmcnt(0)                                       // 000000002CBC: BF8CC07F
	s_add_u32 s51, s44, 0xff                                   // 000000002CC0: 8033FF2C 000000FF
	s_lshr_b32 s50, s51, 8                                     // 000000002CC8: 8F328833
	s_mul_i32 s49, s50, s48                                    // 000000002CCC: 92313032
	s_add_i32 s49, s49, s47                                    // 000000002CD0: 81312F31
	s_add_u32 s51, s43, 0x9f                                   // 000000002CD4: 8033FF2B 0000009F
	s_mov_b32 s63, 0xa0                                        // 000000002CDC: BEBF00FF 000000A0
	v_cvt_f32_u32_e32 v4, s63                                  // 000000002CE4: 7E080C3F
	s_sub_i32 s62, 0, s63                                      // 000000002CE8: 81BE3F80
	v_rcp_iflag_f32_e32 v4, v4                                 // 000000002CEC: 7E084704
	s_nop 0                                                    // 000000002CF0: BF800000
	v_mul_f32_e32 v4, 0x4f7ffffe, v4                           // 000000002CF4: 0A0808FF 4F7FFFFE
	v_cvt_u32_f32_e32 v4, v4                                   // 000000002CFC: 7E080F04
	v_mul_lo_u32 v5, s62, v4                                   // 000000002D00: D2850005 0002083E
	v_mul_hi_u32 v5, v4, v5                                    // 000000002D08: D2860005 00020B04
	v_add_u32_e32 v4, v4, v5                                   // 000000002D10: 68080B04
	v_mul_hi_u32 v4, s51, v4                                   // 000000002D14: D2860004 00020833
	v_mul_lo_u32 v5, v4, s63                                   // 000000002D1C: D2850005 00007F04
	v_sub_u32_e32 v7, s51, v5                                  // 000000002D24: 6A0E0A33
	v_add_u32_e32 v6, 1, v4                                    // 000000002D28: 680C0881
	v_cmp_le_u32_e32 vcc, s63, v7                              // 000000002D2C: 7D960E3F
	v_subrev_u32_e32 v5, s63, v7                               // 000000002D30: 6C0A0E3F
	s_nop 0                                                    // 000000002D34: BF800000
	v_cndmask_b32_e32 v4, v4, v6, vcc                          // 000000002D38: 00080D04
	v_cndmask_b32_e32 v7, v7, v5, vcc                          // 000000002D3C: 000E0B07
	v_add_u32_e32 v5, 1, v4                                    // 000000002D40: 680A0881
	v_cmp_le_u32_e32 vcc, s63, v7                              // 000000002D44: 7D960E3F
	s_nop 1                                                    // 000000002D48: BF800001
	v_cndmask_b32_e32 v7, v4, v5, vcc                          // 000000002D4C: 000E0B04
	s_nop 3                                                    // 000000002D50: BF800003
	v_readfirstlane_b32 s62, v7                                // 000000002D54: 7E7C0507
	s_nop 3                                                    // 000000002D58: BF800003
	s_lshl_b32 s62, s62, 5                                     // 000000002D5C: 8E3E853E
	s_mov_b32 s47, 0                                           // 000000002D60: BEAF0080

0000000000002d64 <label_0059>:
	s_cmp_lt_i32 s49, s62                                      // 000000002D64: BF043E31
	s_cbranch_scc1 label_005E                                  // 000000002D68: BF850003
	s_sub_i32 s49, s49, s62                                    // 000000002D6C: 81B13E31
	s_add_i32 s47, s47, 32                                     // 000000002D70: 812FA02F
	s_branch label_0059                                        // 000000002D74: BF82FFFB

0000000000002d78 <label_005E>:
	s_sub_i32 s50, s50, s47                                    // 000000002D78: 81B22F32
	s_cmp_lt_i32 s50, 32                                       // 000000002D7C: BF04A032
	s_cbranch_scc1 label_0064                                  // 000000002D80: BF850003
	s_lshr_b32 s48, s49, 5                                     // 000000002D84: 8F308531
	s_and_b32 s62, s49, 31                                     // 000000002D88: 863E9F31
	s_branch label_0084                                        // 000000002D8C: BF820020

0000000000002d90 <label_0064>:
	v_cvt_f32_u32_e32 v4, s50                                  // 000000002D90: 7E080C32
	s_sub_i32 s48, 0, s50                                      // 000000002D94: 81B03280
	v_rcp_iflag_f32_e32 v4, v4                                 // 000000002D98: 7E084704
	s_nop 0                                                    // 000000002D9C: BF800000
	v_mul_f32_e32 v4, 0x4f7ffffe, v4                           // 000000002DA0: 0A0808FF 4F7FFFFE
	v_cvt_u32_f32_e32 v4, v4                                   // 000000002DA8: 7E080F04
	v_mul_lo_u32 v5, s48, v4                                   // 000000002DAC: D2850005 00020830
	v_mul_hi_u32 v5, v4, v5                                    // 000000002DB4: D2860005 00020B04
	v_add_u32_e32 v4, v4, v5                                   // 000000002DBC: 68080B04
	v_mul_hi_u32 v4, s49, v4                                   // 000000002DC0: D2860004 00020831
	v_mul_lo_u32 v5, v4, s50                                   // 000000002DC8: D2850005 00006504
	v_sub_u32_e32 v7, s49, v5                                  // 000000002DD0: 6A0E0A31
	v_add_u32_e32 v6, 1, v4                                    // 000000002DD4: 680C0881
	v_cmp_le_u32_e32 vcc, s50, v7                              // 000000002DD8: 7D960E32
	v_subrev_u32_e32 v5, s50, v7                               // 000000002DDC: 6C0A0E32
	s_nop 0                                                    // 000000002DE0: BF800000
	v_cndmask_b32_e32 v4, v4, v6, vcc                          // 000000002DE4: 00080D04
	v_cndmask_b32_e32 v7, v7, v5, vcc                          // 000000002DE8: 000E0B07
	v_add_u32_e32 v5, 1, v4                                    // 000000002DEC: 680A0881
	v_cmp_le_u32_e32 vcc, s50, v7                              // 000000002DF0: 7D960E32
	s_nop 1                                                    // 000000002DF4: BF800001
	v_cndmask_b32_e32 v7, v4, v5, vcc                          // 000000002DF8: 000E0B04
	s_nop 3                                                    // 000000002DFC: BF800003
	v_readfirstlane_b32 s48, v7                                // 000000002E00: 7E600507
	s_nop 3                                                    // 000000002E04: BF800003
	s_mul_i32 s62, s50, s48                                    // 000000002E08: 923E3032
	s_sub_i32 s62, s49, s62                                    // 000000002E0C: 81BE3E31

0000000000002e10 <label_0084>:
	s_add_i32 s47, s62, s47                                    // 000000002E10: 812F2F3E
	s_lshr_b32 s37, s37, 1                                     // 000000002E14: 8F258125
	s_mul_i32 s62, s48, 0xa0                                   // 000000002E18: 923EFF30 000000A0
	s_mul_hi_u32 s63, s37, s62                                 // 000000002E20: 963F3E25
	s_add_u32 s13, s13, s63                                    // 000000002E24: 800D3F0D
	s_mul_i32 s63, s37, s62                                    // 000000002E28: 923F3E25
	s_add_u32 s12, s12, s63                                    // 000000002E2C: 800C3F0C
	s_addc_u32 s13, s13, 0                                     // 000000002E30: 820D800D
	s_sub_i32 s63, s43, s62                                    // 000000002E34: 81BF3E2B
	s_cmp_lt_u32 s63, 0xa0                                     // 000000002E38: BF0AFF3F 000000A0
	s_cselect_b32 s62, s63, 0xa0                               // 000000002E40: 853EFF3F 000000A0
	s_mul_i32 s14, s37, s62                                    // 000000002E48: 920E3E25
	s_mov_b32 s15, 0x20000                                     // 000000002E4C: BE8F00FF 00020000
	v_lshrrev_b32_e32 v4, 3, v0                                // 000000002E54: 20080083
	v_lshrrev_b32_e32 v5, 2, v4                                // 000000002E58: 200A0882
	v_lshlrev_b32_e32 v5, 4, v5                                // 000000002E5C: 240A0A84
	v_and_b32_e32 v4, 3, v4                                    // 000000002E60: 26080883
	v_lshrrev_b32_e32 v6, 1, v4                                // 000000002E64: 200C0881
	v_lshlrev_b32_e32 v6, 2, v6                                // 000000002E68: 240C0C82
	v_add_u32_e32 v5, v5, v6                                   // 000000002E6C: 680A0D05
	v_and_b32_e32 v4, 1, v4                                    // 000000002E70: 26080881
	v_add_u32_e32 v5, v5, v4                                   // 000000002E74: 680A0905
	v_mul_lo_u32 v161, s37, v5                                 // 000000002E78: D28500A1 00020A25
	v_and_b32_e32 v4, 7, v0                                    // 000000002E80: 26080087
	v_lshlrev_b32_e32 v4, 4, v4                                // 000000002E84: 24080884
	v_add_u32_e32 v161, v4, v161                               // 000000002E88: 69434304
	s_lshr_b32 s62, s46, 1                                     // 000000002E8C: 8F3E812E
	s_mul_i32 s62, s62, 8                                      // 000000002E90: 923E883E
	s_and_b32 s63, s46, 1                                      // 000000002E94: 863F812E
	s_mul_i32 s63, s63, 2                                      // 000000002E98: 923F823F
	s_add_u32 s62, s62, s63                                    // 000000002E9C: 803E3F3E
	s_mul_i32 s62, s37, s62                                    // 000000002EA0: 923E3E25
	v_add_u32_e32 v161, s62, v161                              // 000000002EA4: 6943423E
	s_mul_i32 s62, s37, 32                                     // 000000002EA8: 923EA025
	v_add_u32_e32 v162, s62, v161                              // 000000002EAC: 6945423E
	v_add_u32_e32 v163, s62, v162                              // 000000002EB0: 6947443E
	v_add_u32_e32 v164, s62, v163                              // 000000002EB4: 6949463E
	v_add_u32_e32 v165, s62, v164                              // 000000002EB8: 694B483E
	s_mul_i32 s64, 0x420, s46                                  // 000000002EBC: 92402EFF 00000420
	s_add_u32 s64, 0x1000, s64                                 // 000000002EC4: 804040FF 00001000
	v_and_b32_e32 v4, 15, v0                                   // 000000002ECC: 2608008F
	v_lshrrev_b32_e32 v5, 3, v4                                // 000000002ED0: 200A0883
	v_mul_i32_i24_e32 v5, 2, v5                                // 000000002ED4: 0C0A0A82
	v_and_b32_e32 v4, 3, v0                                    // 000000002ED8: 26080083
	v_lshrrev_b32_e32 v6, 1, v4                                // 000000002EDC: 200C0881
	v_add_u32_e32 v4, v5, v6                                   // 000000002EE0: 68080D05
	v_mul_i32_i24_e32 v166, 0x420, v4                          // 000000002EE4: 0D4C08FF 00000420
	v_and_b32_e32 v4, 7, v0                                    // 000000002EEC: 26080087
	v_lshrrev_b32_e32 v5, 2, v4                                // 000000002EF0: 200A0882
	v_mul_i32_i24_e32 v5, 0x100, v5                            // 000000002EF4: 0C0A0AFF 00000100
	v_add_u32_e32 v166, v5, v166                               // 000000002EFC: 694D4D05
	v_and_b32_e32 v4, 1, v0                                    // 000000002F00: 26080081
	v_mul_i32_i24_e32 v6, 0x80, v4                             // 000000002F04: 0C0C08FF 00000080
	v_add_u32_e32 v166, v6, v166                               // 000000002F0C: 694D4D06
	v_lshrrev_b32_e32 v4, 4, v0                                // 000000002F10: 20080084
	v_mul_i32_i24_e32 v4, 16, v4                               // 000000002F14: 0C080890
	v_add_u32_e32 v166, v4, v166                               // 000000002F18: 694D4D04
	v_add_u32_e32 v166, 0x1000, v166                           // 000000002F1C: 694D4CFF 00001000
	v_add_u32_e32 v167, 0x5280, v166                           // 000000002F24: 694F4CFF 00005280
	s_mul_i32 s62, s48, 0xa0                                   // 000000002F2C: 923EFF30 000000A0
	s_mul_hi_u32 s63, s39, s62                                 // 000000002F34: 963F3E27
	s_add_u32 s21, s21, s63                                    // 000000002F38: 80153F15
	s_mul_i32 s63, s39, s62                                    // 000000002F3C: 923F3E27
	s_add_u32 s20, s20, s63                                    // 000000002F40: 80143F14
	s_addc_u32 s21, s21, 0                                     // 000000002F44: 82158015
	s_add_u32 s63, s43, 31                                     // 000000002F48: 803F9F2B
	s_lshr_b32 s63, s63, 5                                     // 000000002F4C: 8F3F853F
	s_lshl_b32 s63, s63, 5                                     // 000000002F50: 8E3F853F
	s_sub_i32 s63, s63, s62                                    // 000000002F54: 81BF3E3F
	s_cmp_lt_u32 s63, 0xa0                                     // 000000002F58: BF0AFF3F 000000A0
	s_cselect_b32 s62, s63, 0xa0                               // 000000002F60: 853EFF3F 000000A0
	s_mul_i32 s22, s39, s62                                    // 000000002F68: 92163E27
	s_mov_b32 s23, 0x20000                                     // 000000002F6C: BE9700FF 00020000
	v_lshlrev_b32_e32 v168, 2, v0                              // 000000002F74: 25500082
	s_mul_i32 s63, s46, 32                                     // 000000002F78: 923FA02E
	s_mul_i32 s63, s63, s39                                    // 000000002F7C: 923F273F
	v_add_u32_e32 v168, s63, v168                              // 000000002F80: 6951503F
	s_mul_i32 s63, 0x80, s39                                   // 000000002F84: 923F27FF 00000080
	v_add_u32_e32 v169, s63, v168                              // 000000002F8C: 6953503F
	s_mul_i32 s65, s46, 0x100                                  // 000000002F90: 9241FF2E 00000100
	s_add_i32 s65, s65, 0                                      // 000000002F98: 81418041
	v_lshlrev_b32_e32 v170, 2, v0                              // 000000002F9C: 25540082
	v_add_u32_e32 v170, 0, v170                                // 000000002FA0: 69555480
	s_lshr_b32 s38, s38, 1                                     // 000000002FA4: 8F268126
	s_mul_i32 s62, s47, 0x100                                  // 000000002FA8: 923EFF2F 00000100
	s_mul_hi_u32 s63, s38, s62                                 // 000000002FB0: 963F3E26
	s_add_u32 s17, s17, s63                                    // 000000002FB4: 80113F11
	s_mul_i32 s63, s38, s62                                    // 000000002FB8: 923F3E26
	s_add_u32 s16, s16, s63                                    // 000000002FBC: 80103F10
	s_addc_u32 s17, s17, 0                                     // 000000002FC0: 82118011
	s_sub_i32 s63, s44, s62                                    // 000000002FC4: 81BF3E2C
	s_cmp_lt_u32 s63, 0x100                                    // 000000002FC8: BF0AFF3F 00000100
	s_cselect_b32 s62, s63, 0x100                              // 000000002FD0: 853EFF3F 00000100
	s_mul_i32 s18, s38, s62                                    // 000000002FD8: 92123E26
	s_mov_b32 s19, 0x20000                                     // 000000002FDC: BE9300FF 00020000
	v_lshlrev_b32_e32 v171, 4, v0                              // 000000002FE4: 25560084
	s_mul_i32 s63, s46, 64                                     // 000000002FE8: 923FC02E
	s_mul_i32 s62, s63, s38                                    // 000000002FEC: 923E263F
	v_add_u32_e32 v171, s62, v171                              // 000000002FF0: 6957563E
	s_mul_i32 s62, 16, s38                                     // 000000002FF4: 923E2690
	v_add_u32_e32 v172, s62, v171                              // 000000002FF8: 6959563E
	v_add_u32_e32 v173, s62, v172                              // 000000002FFC: 695B583E
	v_add_u32_e32 v174, s62, v173                              // 000000003000: 695D5A3E
	s_mul_i32 s62, s47, 0x100                                  // 000000003004: 923EFF2F 00000100
	s_mul_hi_u32 s63, s40, s62                                 // 00000000300C: 963F3E28
	s_add_u32 s25, s25, s63                                    // 000000003010: 80193F19
	s_mul_i32 s63, s40, s62                                    // 000000003014: 923F3E28
	s_add_u32 s24, s24, s63                                    // 000000003018: 80183F18
	s_addc_u32 s25, s25, 0                                     // 00000000301C: 82198019
	s_sub_i32 s63, s44, s62                                    // 000000003020: 81BF3E2C
	s_cmp_lt_u32 s63, 0x100                                    // 000000003024: BF0AFF3F 00000100
	s_cselect_b32 s62, s63, 0x100                              // 00000000302C: 853EFF3F 00000100
	s_mul_i32 s26, s40, s62                                    // 000000003034: 921A3E28
	s_mov_b32 s27, 0x20000                                     // 000000003038: BE9B00FF 00020000
	v_lshlrev_b32_e32 v175, 2, v0                              // 000000003040: 255E0082
	s_mul_i32 s63, s46, 64                                     // 000000003044: 923FC02E
	s_mul_i32 s63, s63, s40                                    // 000000003048: 923F283F
	v_add_u32_e32 v175, s63, v175                              // 00000000304C: 695F5E3F
	s_mul_i32 s62, 32, s40                                     // 000000003050: 923E28A0
	v_add_u32_e32 v176, s62, v175                              // 000000003054: 69615E3E
	s_mov_b32 s66, 0x80                                        // 000000003058: BEC200FF 00000080
	s_mov_b32 s67, 0x800                                       // 000000003060: BEC300FF 00000800
	s_mov_b32 s68, 0x100                                       // 000000003068: BEC400FF 00000100
	s_mov_b32 s69, 0x100                                       // 000000003070: BEC500FF 00000100
	s_mov_b32 s60, 0                                           // 000000003078: BEBC0080
	s_mov_b32 s61, s45                                         // 00000000307C: BEBD002D
	s_add_u32 m0, 0, s65                                       // 000000003080: 807C4180
	buffer_load_dword v168, s[20:23], 0 offen lds              // 000000003084: E0511000 800500A8
	v_accvgpr_write_b32 a0, 0                                  // 00000000308C: D3D94000 18000080
	v_accvgpr_write_b32 a1, 0                                  // 000000003094: D3D94001 18000080
	v_accvgpr_write_b32 a2, 0                                  // 00000000309C: D3D94002 18000080
	v_accvgpr_write_b32 a3, 0                                  // 0000000030A4: D3D94003 18000080
	v_accvgpr_write_b32 a4, 0                                  // 0000000030AC: D3D94004 18000080
	v_accvgpr_write_b32 a5, 0                                  // 0000000030B4: D3D94005 18000080
	s_add_u32 m0, 0x400, s65                                   // 0000000030BC: 807C41FF 00000400
	buffer_load_dword v169, s[20:23], 0 offen lds              // 0000000030C4: E0511000 800500A9
	v_accvgpr_write_b32 a6, 0                                  // 0000000030CC: D3D94006 18000080
	v_accvgpr_write_b32 a7, 0                                  // 0000000030D4: D3D94007 18000080
	v_accvgpr_write_b32 a8, 0                                  // 0000000030DC: D3D94008 18000080
	v_accvgpr_write_b32 a9, 0                                  // 0000000030E4: D3D94009 18000080
	v_accvgpr_write_b32 a10, 0                                 // 0000000030EC: D3D9400A 18000080
	v_accvgpr_write_b32 a11, 0                                 // 0000000030F4: D3D9400B 18000080
	s_add_u32 m0, 0, s64                                       // 0000000030FC: 807C4080
	buffer_load_dwordx4 v161, s[12:15], 0 offen lds            // 000000003100: E05D1000 800300A1
	v_accvgpr_write_b32 a12, 0                                 // 000000003108: D3D9400C 18000080
	v_accvgpr_write_b32 a13, 0                                 // 000000003110: D3D9400D 18000080
	v_accvgpr_write_b32 a14, 0                                 // 000000003118: D3D9400E 18000080
	v_accvgpr_write_b32 a15, 0                                 // 000000003120: D3D9400F 18000080
	v_accvgpr_write_b32 a16, 0                                 // 000000003128: D3D94010 18000080
	v_accvgpr_write_b32 a17, 0                                 // 000000003130: D3D94011 18000080
	s_add_u32 m0, 0x1080, s64                                  // 000000003138: 807C40FF 00001080
	buffer_load_dwordx4 v162, s[12:15], 0 offen lds            // 000000003140: E05D1000 800300A2
	v_accvgpr_write_b32 a18, 0                                 // 000000003148: D3D94012 18000080
	v_accvgpr_write_b32 a19, 0                                 // 000000003150: D3D94013 18000080
	v_accvgpr_write_b32 a20, 0                                 // 000000003158: D3D94014 18000080
	v_accvgpr_write_b32 a21, 0                                 // 000000003160: D3D94015 18000080
	v_accvgpr_write_b32 a22, 0                                 // 000000003168: D3D94016 18000080
	v_accvgpr_write_b32 a23, 0                                 // 000000003170: D3D94017 18000080
	s_add_u32 m0, 0x2100, s64                                  // 000000003178: 807C40FF 00002100
	buffer_load_dwordx4 v163, s[12:15], 0 offen lds            // 000000003180: E05D1000 800300A3
	v_accvgpr_write_b32 a24, 0                                 // 000000003188: D3D94018 18000080
	v_accvgpr_write_b32 a25, 0                                 // 000000003190: D3D94019 18000080
	v_accvgpr_write_b32 a26, 0                                 // 000000003198: D3D9401A 18000080
	v_accvgpr_write_b32 a27, 0                                 // 0000000031A0: D3D9401B 18000080
	v_accvgpr_write_b32 a28, 0                                 // 0000000031A8: D3D9401C 18000080
	v_accvgpr_write_b32 a29, 0                                 // 0000000031B0: D3D9401D 18000080
	s_add_u32 m0, 0x3180, s64                                  // 0000000031B8: 807C40FF 00003180
	buffer_load_dwordx4 v164, s[12:15], 0 offen lds            // 0000000031C0: E05D1000 800300A4
	v_accvgpr_write_b32 a30, 0                                 // 0000000031C8: D3D9401E 18000080
	v_accvgpr_write_b32 a31, 0                                 // 0000000031D0: D3D9401F 18000080
	v_accvgpr_write_b32 a32, 0                                 // 0000000031D8: D3D94020 18000080
	v_accvgpr_write_b32 a33, 0                                 // 0000000031E0: D3D94021 18000080
	v_accvgpr_write_b32 a34, 0                                 // 0000000031E8: D3D94022 18000080
	v_accvgpr_write_b32 a35, 0                                 // 0000000031F0: D3D94023 18000080
	s_add_u32 m0, 0x4200, s64                                  // 0000000031F8: 807C40FF 00004200
	buffer_load_dwordx4 v165, s[12:15], 0 offen lds            // 000000003200: E05D1000 800300A5
	v_accvgpr_write_b32 a36, 0                                 // 000000003208: D3D94024 18000080
	v_accvgpr_write_b32 a37, 0                                 // 000000003210: D3D94025 18000080
	v_accvgpr_write_b32 a38, 0                                 // 000000003218: D3D94026 18000080
	v_accvgpr_write_b32 a39, 0                                 // 000000003220: D3D94027 18000080
	v_accvgpr_write_b32 a40, 0                                 // 000000003228: D3D94028 18000080
	v_accvgpr_write_b32 a41, 0                                 // 000000003230: D3D94029 18000080
	buffer_load_dwordx4 v[88:91], v171, s[16:19], 0 offen      // 000000003238: E05C1000 800458AB
	v_accvgpr_write_b32 a42, 0                                 // 000000003240: D3D9402A 18000080
	v_accvgpr_write_b32 a43, 0                                 // 000000003248: D3D9402B 18000080
	v_accvgpr_write_b32 a44, 0                                 // 000000003250: D3D9402C 18000080
	v_accvgpr_write_b32 a45, 0                                 // 000000003258: D3D9402D 18000080
	v_accvgpr_write_b32 a46, 0                                 // 000000003260: D3D9402E 18000080
	v_accvgpr_write_b32 a47, 0                                 // 000000003268: D3D9402F 18000080
	buffer_load_dwordx4 v[92:95], v172, s[16:19], 0 offen      // 000000003270: E05C1000 80045CAC
	v_accvgpr_write_b32 a48, 0                                 // 000000003278: D3D94030 18000080
	v_accvgpr_write_b32 a49, 0                                 // 000000003280: D3D94031 18000080
	v_accvgpr_write_b32 a50, 0                                 // 000000003288: D3D94032 18000080
	v_accvgpr_write_b32 a51, 0                                 // 000000003290: D3D94033 18000080
	v_accvgpr_write_b32 a52, 0                                 // 000000003298: D3D94034 18000080
	v_accvgpr_write_b32 a53, 0                                 // 0000000032A0: D3D94035 18000080
	buffer_load_dwordx4 v[96:99], v171, s[16:19], 0 offen offset:1024// 0000000032A8: E05C1400 800460AB
	v_accvgpr_write_b32 a54, 0                                 // 0000000032B0: D3D94036 18000080
	v_accvgpr_write_b32 a55, 0                                 // 0000000032B8: D3D94037 18000080
	v_accvgpr_write_b32 a56, 0                                 // 0000000032C0: D3D94038 18000080
	v_accvgpr_write_b32 a57, 0                                 // 0000000032C8: D3D94039 18000080
	v_accvgpr_write_b32 a58, 0                                 // 0000000032D0: D3D9403A 18000080
	v_accvgpr_write_b32 a59, 0                                 // 0000000032D8: D3D9403B 18000080
	buffer_load_dwordx4 v[100:103], v172, s[16:19], 0 offen offset:1024// 0000000032E0: E05C1400 800464AC
	v_accvgpr_write_b32 a60, 0                                 // 0000000032E8: D3D9403C 18000080
	v_accvgpr_write_b32 a61, 0                                 // 0000000032F0: D3D9403D 18000080
	v_accvgpr_write_b32 a62, 0                                 // 0000000032F8: D3D9403E 18000080
	v_accvgpr_write_b32 a63, 0                                 // 000000003300: D3D9403F 18000080
	v_accvgpr_write_b32 a64, 0                                 // 000000003308: D3D94040 18000080
	v_accvgpr_write_b32 a65, 0                                 // 000000003310: D3D94041 18000080
	buffer_load_dword v157, v175, s[24:27], 0 offen            // 000000003318: E0501000 80069DAF
	v_accvgpr_write_b32 a66, 0                                 // 000000003320: D3D94042 18000080
	v_accvgpr_write_b32 a67, 0                                 // 000000003328: D3D94043 18000080
	v_accvgpr_write_b32 a68, 0                                 // 000000003330: D3D94044 18000080
	v_accvgpr_write_b32 a69, 0                                 // 000000003338: D3D94045 18000080
	v_accvgpr_write_b32 a70, 0                                 // 000000003340: D3D94046 18000080
	v_accvgpr_write_b32 a71, 0                                 // 000000003348: D3D94047 18000080
	s_add_u32 s62, 0x100, s60                                  // 000000003350: 803E3CFF 00000100
	s_cmp_lt_u32 s62, s61                                      // 000000003358: BF0A3D3E
	s_cselect_b32 s66, s66, 0                                  // 00000000335C: 85428042
	s_cselect_b32 s68, s68, 0                                  // 000000003360: 85448044
	s_add_u32 s12, s12, s66                                    // 000000003364: 800C420C
	s_addc_u32 s13, 0, s13                                     // 000000003368: 820D0D80
	s_sub_u32 s14, s14, s66                                    // 00000000336C: 808E420E
	s_add_u32 s20, s20, s68                                    // 000000003370: 80144414
	s_addc_u32 s21, 0, s21                                     // 000000003374: 82151580
	s_sub_u32 s22, s22, s68                                    // 000000003378: 80964416
	buffer_load_dwordx4 v[104:107], v173, s[16:19], 0 offen    // 00000000337C: E05C1000 800468AD
	v_accvgpr_write_b32 a72, 0                                 // 000000003384: D3D94048 18000080
	v_accvgpr_write_b32 a73, 0                                 // 00000000338C: D3D94049 18000080
	v_accvgpr_write_b32 a74, 0                                 // 000000003394: D3D9404A 18000080
	v_accvgpr_write_b32 a75, 0                                 // 00000000339C: D3D9404B 18000080
	v_accvgpr_write_b32 a76, 0                                 // 0000000033A4: D3D9404C 18000080
	v_accvgpr_write_b32 a77, 0                                 // 0000000033AC: D3D9404D 18000080
	buffer_load_dwordx4 v[108:111], v174, s[16:19], 0 offen    // 0000000033B4: E05C1000 80046CAE
	v_accvgpr_write_b32 a78, 0                                 // 0000000033BC: D3D9404E 18000080
	v_accvgpr_write_b32 a79, 0                                 // 0000000033C4: D3D9404F 18000080
	v_accvgpr_write_b32 a80, 0                                 // 0000000033CC: D3D94050 18000080
	v_accvgpr_write_b32 a81, 0                                 // 0000000033D4: D3D94051 18000080
	v_accvgpr_write_b32 a82, 0                                 // 0000000033DC: D3D94052 18000080
	v_accvgpr_write_b32 a83, 0                                 // 0000000033E4: D3D94053 18000080
	buffer_load_dwordx4 v[112:115], v173, s[16:19], 0 offen offset:1024// 0000000033EC: E05C1400 800470AD
	v_accvgpr_write_b32 a84, 0                                 // 0000000033F4: D3D94054 18000080
	v_accvgpr_write_b32 a85, 0                                 // 0000000033FC: D3D94055 18000080
	v_accvgpr_write_b32 a86, 0                                 // 000000003404: D3D94056 18000080
	v_accvgpr_write_b32 a87, 0                                 // 00000000340C: D3D94057 18000080
	v_accvgpr_write_b32 a88, 0                                 // 000000003414: D3D94058 18000080
	v_accvgpr_write_b32 a89, 0                                 // 00000000341C: D3D94059 18000080
	buffer_load_dwordx4 v[116:119], v174, s[16:19], 0 offen offset:1024// 000000003424: E05C1400 800474AE
	v_accvgpr_write_b32 a90, 0                                 // 00000000342C: D3D9405A 18000080
	v_accvgpr_write_b32 a91, 0                                 // 000000003434: D3D9405B 18000080
	v_accvgpr_write_b32 a92, 0                                 // 00000000343C: D3D9405C 18000080
	v_accvgpr_write_b32 a93, 0                                 // 000000003444: D3D9405D 18000080
	v_accvgpr_write_b32 a94, 0                                 // 00000000344C: D3D9405E 18000080
	v_accvgpr_write_b32 a95, 0                                 // 000000003454: D3D9405F 18000080
	buffer_load_dword v158, v176, s[24:27], 0 offen            // 00000000345C: E0501000 80069EB0
	v_accvgpr_write_b32 a96, 0                                 // 000000003464: D3D94060 18000080
	v_accvgpr_write_b32 a97, 0                                 // 00000000346C: D3D94061 18000080
	v_accvgpr_write_b32 a98, 0                                 // 000000003474: D3D94062 18000080
	v_accvgpr_write_b32 a99, 0                                 // 00000000347C: D3D94063 18000080
	v_accvgpr_write_b32 a100, 0                                // 000000003484: D3D94064 18000080
	v_accvgpr_write_b32 a101, 0                                // 00000000348C: D3D94065 18000080
	s_add_u32 s63, 0x100, s60                                  // 000000003494: 803F3CFF 00000100
	s_cmp_lt_u32 s63, s61                                      // 00000000349C: BF0A3D3F
	s_cselect_b32 s67, s67, 0                                  // 0000000034A0: 85438043
	s_cselect_b32 s69, s69, 0                                  // 0000000034A4: 85458045
	s_add_u32 s16, s16, s67                                    // 0000000034A8: 80104310
	s_addc_u32 s17, 0, s17                                     // 0000000034AC: 82111180
	s_sub_u32 s18, s18, s67                                    // 0000000034B0: 80924312
	s_add_u32 s24, s24, s69                                    // 0000000034B4: 80184518
	s_addc_u32 s25, 0, s25                                     // 0000000034B8: 82191980
	s_sub_u32 s26, s26, s69                                    // 0000000034BC: 809A451A
	s_add_u32 m0, 0x800, s65                                   // 0000000034C0: 807C41FF 00000800
	buffer_load_dword v168, s[20:23], 0 offen lds              // 0000000034C8: E0511000 800500A8
	v_accvgpr_write_b32 a102, 0                                // 0000000034D0: D3D94066 18000080
	v_accvgpr_write_b32 a103, 0                                // 0000000034D8: D3D94067 18000080
	v_accvgpr_write_b32 a104, 0                                // 0000000034E0: D3D94068 18000080
	v_accvgpr_write_b32 a105, 0                                // 0000000034E8: D3D94069 18000080
	v_accvgpr_write_b32 a106, 0                                // 0000000034F0: D3D9406A 18000080
	v_accvgpr_write_b32 a107, 0                                // 0000000034F8: D3D9406B 18000080
	s_add_u32 m0, 0xc00, s65                                   // 000000003500: 807C41FF 00000C00
	buffer_load_dword v169, s[20:23], 0 offen lds              // 000000003508: E0511000 800500A9
	v_accvgpr_write_b32 a108, 0                                // 000000003510: D3D9406C 18000080
	v_accvgpr_write_b32 a109, 0                                // 000000003518: D3D9406D 18000080
	v_accvgpr_write_b32 a110, 0                                // 000000003520: D3D9406E 18000080
	v_accvgpr_write_b32 a111, 0                                // 000000003528: D3D9406F 18000080
	v_accvgpr_write_b32 a112, 0                                // 000000003530: D3D94070 18000080
	v_accvgpr_write_b32 a113, 0                                // 000000003538: D3D94071 18000080
	s_add_u32 m0, 0x5280, s64                                  // 000000003540: 807C40FF 00005280
	buffer_load_dwordx4 v161, s[12:15], 0 offen lds            // 000000003548: E05D1000 800300A1
	v_accvgpr_write_b32 a114, 0                                // 000000003550: D3D94072 18000080
	v_accvgpr_write_b32 a115, 0                                // 000000003558: D3D94073 18000080
	v_accvgpr_write_b32 a116, 0                                // 000000003560: D3D94074 18000080
	v_accvgpr_write_b32 a117, 0                                // 000000003568: D3D94075 18000080
	v_accvgpr_write_b32 a118, 0                                // 000000003570: D3D94076 18000080
	v_accvgpr_write_b32 a119, 0                                // 000000003578: D3D94077 18000080
	s_add_u32 m0, 0x6300, s64                                  // 000000003580: 807C40FF 00006300
	buffer_load_dwordx4 v162, s[12:15], 0 offen lds            // 000000003588: E05D1000 800300A2
	v_accvgpr_write_b32 a120, 0                                // 000000003590: D3D94078 18000080
	v_accvgpr_write_b32 a121, 0                                // 000000003598: D3D94079 18000080
	v_accvgpr_write_b32 a122, 0                                // 0000000035A0: D3D9407A 18000080
	v_accvgpr_write_b32 a123, 0                                // 0000000035A8: D3D9407B 18000080
	v_accvgpr_write_b32 a124, 0                                // 0000000035B0: D3D9407C 18000080
	v_accvgpr_write_b32 a125, 0                                // 0000000035B8: D3D9407D 18000080
	s_add_u32 m0, 0x7380, s64                                  // 0000000035C0: 807C40FF 00007380
	buffer_load_dwordx4 v163, s[12:15], 0 offen lds            // 0000000035C8: E05D1000 800300A3
	v_accvgpr_write_b32 a126, 0                                // 0000000035D0: D3D9407E 18000080
	v_accvgpr_write_b32 a127, 0                                // 0000000035D8: D3D9407F 18000080
	v_accvgpr_write_b32 a128, 0                                // 0000000035E0: D3D94080 18000080
	v_accvgpr_write_b32 a129, 0                                // 0000000035E8: D3D94081 18000080
	v_accvgpr_write_b32 a130, 0                                // 0000000035F0: D3D94082 18000080
	v_accvgpr_write_b32 a131, 0                                // 0000000035F8: D3D94083 18000080
	s_add_u32 m0, 0x8400, s64                                  // 000000003600: 807C40FF 00008400
	buffer_load_dwordx4 v164, s[12:15], 0 offen lds            // 000000003608: E05D1000 800300A4
	v_accvgpr_write_b32 a132, 0                                // 000000003610: D3D94084 18000080
	v_accvgpr_write_b32 a133, 0                                // 000000003618: D3D94085 18000080
	v_accvgpr_write_b32 a134, 0                                // 000000003620: D3D94086 18000080
	v_accvgpr_write_b32 a135, 0                                // 000000003628: D3D94087 18000080
	v_accvgpr_write_b32 a136, 0                                // 000000003630: D3D94088 18000080
	v_accvgpr_write_b32 a137, 0                                // 000000003638: D3D94089 18000080
	s_add_u32 m0, 0x9480, s64                                  // 000000003640: 807C40FF 00009480
	buffer_load_dwordx4 v165, s[12:15], 0 offen lds            // 000000003648: E05D1000 800300A5
	v_accvgpr_write_b32 a138, 0                                // 000000003650: D3D9408A 18000080
	v_accvgpr_write_b32 a139, 0                                // 000000003658: D3D9408B 18000080
	v_accvgpr_write_b32 a140, 0                                // 000000003660: D3D9408C 18000080
	v_accvgpr_write_b32 a141, 0                                // 000000003668: D3D9408D 18000080
	v_accvgpr_write_b32 a142, 0                                // 000000003670: D3D9408E 18000080
	v_accvgpr_write_b32 a143, 0                                // 000000003678: D3D9408F 18000080
	buffer_load_dwordx4 v[120:123], v171, s[16:19], 0 offen    // 000000003680: E05C1000 800478AB
	v_accvgpr_write_b32 a144, 0                                // 000000003688: D3D94090 18000080
	v_accvgpr_write_b32 a145, 0                                // 000000003690: D3D94091 18000080
	v_accvgpr_write_b32 a146, 0                                // 000000003698: D3D94092 18000080
	v_accvgpr_write_b32 a147, 0                                // 0000000036A0: D3D94093 18000080
	v_accvgpr_write_b32 a148, 0                                // 0000000036A8: D3D94094 18000080
	v_accvgpr_write_b32 a149, 0                                // 0000000036B0: D3D94095 18000080
	buffer_load_dwordx4 v[124:127], v172, s[16:19], 0 offen    // 0000000036B8: E05C1000 80047CAC
	v_accvgpr_write_b32 a150, 0                                // 0000000036C0: D3D94096 18000080
	v_accvgpr_write_b32 a151, 0                                // 0000000036C8: D3D94097 18000080
	v_accvgpr_write_b32 a152, 0                                // 0000000036D0: D3D94098 18000080
	v_accvgpr_write_b32 a153, 0                                // 0000000036D8: D3D94099 18000080
	v_accvgpr_write_b32 a154, 0                                // 0000000036E0: D3D9409A 18000080
	v_accvgpr_write_b32 a155, 0                                // 0000000036E8: D3D9409B 18000080
	buffer_load_dwordx4 v[128:131], v171, s[16:19], 0 offen offset:1024// 0000000036F0: E05C1400 800480AB
	v_accvgpr_write_b32 a156, 0                                // 0000000036F8: D3D9409C 18000080
	v_accvgpr_write_b32 a157, 0                                // 000000003700: D3D9409D 18000080
	v_accvgpr_write_b32 a158, 0                                // 000000003708: D3D9409E 18000080
	v_accvgpr_write_b32 a159, 0                                // 000000003710: D3D9409F 18000080
	buffer_load_dwordx4 v[132:135], v172, s[16:19], 0 offen offset:1024// 000000003718: E05C1400 800484AC
	buffer_load_dword v159, v175, s[24:27], 0 offen            // 000000003720: E0501000 80069FAF
	s_add_u32 s62, 0x200, s60                                  // 000000003728: 803E3CFF 00000200
	s_cmp_lt_u32 s62, s61                                      // 000000003730: BF0A3D3E
	s_cselect_b32 s66, s66, 0                                  // 000000003734: 85428042
	s_cselect_b32 s68, s68, 0                                  // 000000003738: 85448044
	s_add_u32 s12, s12, s66                                    // 00000000373C: 800C420C
	s_addc_u32 s13, 0, s13                                     // 000000003740: 820D0D80
	s_sub_u32 s14, s14, s66                                    // 000000003744: 808E420E
	s_add_u32 s20, s20, s68                                    // 000000003748: 80144414
	s_addc_u32 s21, 0, s21                                     // 00000000374C: 82151580
	s_sub_u32 s22, s22, s68                                    // 000000003750: 80964416
	s_waitcnt vmcnt(25)                                        // 000000003754: BF8C4F79
	s_barrier                                                  // 000000003758: BF8A0000
	ds_read_b128 v[8:11], v166                                 // 00000000375C: D9FE0000 080000A6
	ds_read_b128 v[16:19], v166 offset:64                      // 000000003764: D9FE0040 100000A6
	ds_read_b128 v[12:15], v166 offset:512                     // 00000000376C: D9FE0200 0C0000A6
	ds_read_b128 v[20:23], v166 offset:576                     // 000000003774: D9FE0240 140000A6
	ds_read_b32 v152, v170                                     // 00000000377C: D86C0000 980000AA
	ds_read_b128 v[24:27], v166 offset:4224                    // 000000003784: D9FE1080 180000A6
	ds_read_b128 v[32:35], v166 offset:4288                    // 00000000378C: D9FE10C0 200000A6
	ds_read_b128 v[28:31], v166 offset:4736                    // 000000003794: D9FE1280 1C0000A6
	ds_read_b128 v[36:39], v166 offset:4800                    // 00000000379C: D9FE12C0 240000A6
	ds_read_b32 v153, v170 offset:256                          // 0000000037A4: D86C0100 990000AA
	s_nop 0                                                    // 0000000037AC: BF800000
	s_nop 0                                                    // 0000000037B0: BF800000
	s_nop 0                                                    // 0000000037B4: BF800000
	s_nop 0                                                    // 0000000037B8: BF800000
	s_nop 0                                                    // 0000000037BC: BF800000
	s_lshl_b32 s36, s36, 1                                     // 0000000037C0: 8E248124
	s_mul_i32 s62, s48, 0xa0                                   // 0000000037C4: 923EFF30 000000A0
	s_mul_hi_u32 s63, s36, s62                                 // 0000000037CC: 963F3E24
	s_add_u32 s5, s5, s63                                      // 0000000037D0: 80053F05
	s_mul_i32 s63, s36, s62                                    // 0000000037D4: 923F3E24
	s_add_u32 s4, s4, s63                                      // 0000000037D8: 80043F04
	s_addc_u32 s5, s5, 0                                       // 0000000037DC: 82058005
	s_mul_i32 s63, s47, 0x100                                  // 0000000037E0: 923FFF2F 00000100
	s_lshl_b32 s63, s63, 1                                     // 0000000037E8: 8E3F813F
	s_add_u32 s4, s4, s63                                      // 0000000037EC: 80043F04
	s_addc_u32 s5, s5, 0                                       // 0000000037F0: 82058005
	s_sub_i32 s62, s43, s62                                    // 0000000037F4: 81BE3E2B
	s_cmp_lt_u32 s62, 0xa0                                     // 0000000037F8: BF0AFF3E 000000A0
	s_cselect_b32 s62, s62, 0xa0                               // 000000003800: 853EFF3E 000000A0
	s_mul_i32 s62, s36, s62                                    // 000000003808: 923E3E24
	s_sub_i32 s6, s62, s63                                     // 00000000380C: 81863F3E
	s_mov_b32 s7, 0x20000                                      // 000000003810: BE8700FF 00020000
	s_mul_i32 s62, s46, 64                                     // 000000003818: 923EC02E
	s_lshl_b32 s62, s62, 1                                     // 00000000381C: 8E3E813E
	v_lshrrev_b32_e32 v4, 5, v0                                // 000000003820: 20080085
	v_mul_i32_i24_e32 v4, 16, v4                               // 000000003824: 0C080890
	v_lshrrev_b32_e32 v5, 4, v0                                // 000000003828: 200A0084
	v_and_b32_e32 v5, 1, v5                                    // 00000000382C: 260A0A81
	v_mul_i32_i24_e32 v5, 32, v5                               // 000000003830: 0C0A0AA0
	v_add_u32_e32 v4, v4, v5                                   // 000000003834: 68080B04
	v_and_b32_e32 v5, 15, v0                                   // 000000003838: 260A008F
	v_mul_lo_u32 v177, s36, v5                                 // 00000000383C: D28500B1 00020A24
	v_add_u32_e32 v177, s62, v177                              // 000000003844: 6963623E
	v_add_u32_e32 v177, v4, v177                               // 000000003848: 69636304
	s_cmp_lt_i32 s46, 2                                        // 00000000384C: BF04822E
	s_cbranch_scc0 label_069E                                  // 000000003850: BF840389

0000000000003854 <label_0315>:
	s_waitcnt vmcnt(17) lgkmcnt(5)                             // 000000003854: BF8C4571
	s_barrier                                                  // 000000003858: BF8A0000
	v_mfma_scale_f32_16x16x128_f8f6f4 a[0:3], v[88:91], v[8:11], a[0:3], v157, v152 op_sel_hi:[0,0,0] cbsz:4 blgp:4// 00000000385C: D3AC6000 0003319D D3AD8C00 84021158
	s_add_u32 s63, 0x200, s60                                  // 00000000386C: 803F3CFF 00000200
	ds_read_b128 v[40:43], v166 offset:8448                    // 000000003874: D9FE2100 280000A6
	v_mfma_scale_f32_16x16x128_f8f6f4 a[4:7], v[88:91], v[12:15], a[4:7], v157, v152 op_sel_hi:[0,0,0] cbsz:4 blgp:4// 00000000387C: D3AC7000 0003319D D3AD8C04 84121958
	s_cmp_lt_u32 s63, s61                                      // 00000000388C: BF0A3D3F
	buffer_load_dwordx4 v[136:139], v173, s[16:19], 0 offen    // 000000003890: E05C1000 800488AD
	v_mfma_scale_f32_16x16x128_f8f6f4 a[8:11], v[92:95], v[8:11], a[8:11], v157, v152 op_sel_hi:[0,0,0] cbsz:4 blgp:4// 000000003898: D3AC6800 0003319D D3AD8C08 8422115C
	s_cselect_b32 s67, s67, 0                                  // 0000000038A8: 85438043
	ds_read_b128 v[48:51], v166 offset:8512                    // 0000000038AC: D9FE2140 300000A6
	v_mfma_scale_f32_16x16x128_f8f6f4 a[12:15], v[92:95], v[12:15], a[12:15], v157, v152 op_sel_hi:[0,0,0] cbsz:4 blgp:4// 0000000038B4: D3AC7800 0003319D D3AD8C0C 8432195C
	s_cselect_b32 s69, s69, 0                                  // 0000000038C4: 85458045
	v_mfma_scale_f32_16x16x128_f8f6f4 a[0:3], v[96:99], v[16:19], a[0:3], v157, v152 op_sel_hi:[0,0,0] cbsz:4 blgp:4// 0000000038C8: D3AC6000 1803319D D3AD8C00 84022160
	ds_read_b128 v[44:47], v166 offset:8960                    // 0000000038D8: D9FE2300 2C0000A6
	v_mfma_scale_f32_16x16x128_f8f6f4 a[4:7], v[96:99], v[20:23], a[4:7], v157, v152 op_sel_hi:[0,0,0] cbsz:4 blgp:4// 0000000038E0: D3AC7000 1803319D D3AD8C04 84122960
	buffer_load_dwordx4 v[140:143], v174, s[16:19], 0 offen    // 0000000038F0: E05C1000 80048CAE
	v_mfma_scale_f32_16x16x128_f8f6f4 a[8:11], v[100:103], v[16:19], a[8:11], v157, v152 op_sel_hi:[0,0,0] cbsz:4 blgp:4// 0000000038F8: D3AC6800 1803319D D3AD8C08 84222164
	ds_read_b128 v[52:55], v166 offset:9024                    // 000000003908: D9FE2340 340000A6
	v_mfma_scale_f32_16x16x128_f8f6f4 a[12:15], v[100:103], v[20:23], a[12:15], v157, v152 op_sel_hi:[0,0,0] cbsz:4 blgp:4// 000000003910: D3AC7800 1803319D D3AD8C0C 84322964
	ds_read_b32 v154, v170 offset:512                          // 000000003920: D86C0200 9A0000AA
	s_waitcnt lgkmcnt(5)                                       // 000000003928: BF8CC57F
	v_mfma_scale_f32_16x16x128_f8f6f4 a[32:35], v[88:91], v[24:27], a[32:35], v157, v153 op_sel_hi:[0,0,0] cbsz:4 blgp:4// 00000000392C: D3AC6000 0003339D D3AD8C20 84823158
	ds_read_b128 v[56:59], v166 offset:12672                   // 00000000393C: D9FE3180 380000A6
	v_mfma_scale_f32_16x16x128_f8f6f4 a[36:39], v[88:91], v[28:31], a[36:39], v157, v153 op_sel_hi:[0,0,0] cbsz:4 blgp:4// 000000003944: D3AC7000 0003339D D3AD8C24 84923958
	buffer_load_dwordx4 v[144:147], v173, s[16:19], 0 offen offset:1024// 000000003954: E05C1400 800490AD
	v_mfma_scale_f32_16x16x128_f8f6f4 a[40:43], v[92:95], v[24:27], a[40:43], v157, v153 op_sel_hi:[0,0,0] cbsz:4 blgp:4// 00000000395C: D3AC6800 0003339D D3AD8C28 84A2315C
	ds_read_b128 v[64:67], v166 offset:12736                   // 00000000396C: D9FE31C0 400000A6
	v_mfma_scale_f32_16x16x128_f8f6f4 a[44:47], v[92:95], v[28:31], a[44:47], v157, v153 op_sel_hi:[0,0,0] cbsz:4 blgp:4// 000000003974: D3AC7800 0003339D D3AD8C2C 84B2395C
	v_mfma_scale_f32_16x16x128_f8f6f4 a[32:35], v[96:99], v[32:35], a[32:35], v157, v153 op_sel_hi:[0,0,0] cbsz:4 blgp:4// 000000003984: D3AC6000 1803339D D3AD8C20 84824160
	ds_read_b128 v[60:63], v166 offset:13184                   // 000000003994: D9FE3380 3C0000A6
	v_mfma_scale_f32_16x16x128_f8f6f4 a[36:39], v[96:99], v[36:39], a[36:39], v157, v153 op_sel_hi:[0,0,0] cbsz:4 blgp:4// 00000000399C: D3AC7000 1803339D D3AD8C24 84924960
	buffer_load_dwordx4 v[148:151], v174, s[16:19], 0 offen offset:1024// 0000000039AC: E05C1400 800494AE
	v_mfma_scale_f32_16x16x128_f8f6f4 a[40:43], v[100:103], v[32:35], a[40:43], v157, v153 op_sel_hi:[0,0,0] cbsz:4 blgp:4// 0000000039B4: D3AC6800 1803339D D3AD8C28 84A24164
	ds_read_b128 v[68:71], v166 offset:13248                   // 0000000039C4: D9FE33C0 440000A6
	v_mfma_scale_f32_16x16x128_f8f6f4 a[44:47], v[100:103], v[36:39], a[44:47], v157, v153 op_sel_hi:[0,0,0] cbsz:4 blgp:4// 0000000039CC: D3AC7800 1803339D D3AD8C2C 84B24964
	ds_read_b32 v155, v170 offset:768                          // 0000000039DC: D86C0300 9B0000AA
	s_waitcnt lgkmcnt(5)                                       // 0000000039E4: BF8CC57F
	v_mfma_scale_f32_16x16x128_f8f6f4 a[64:67], v[88:91], v[40:43], a[64:67], v157, v154 op_sel_hi:[0,0,0] cbsz:4 blgp:4// 0000000039E8: D3AC6000 0003359D D3AD8C40 85025158
	ds_read_b128 v[72:75], v166 offset:16896                   // 0000000039F8: D9FE4200 480000A6
	v_mfma_scale_f32_16x16x128_f8f6f4 a[68:71], v[88:91], v[44:47], a[68:71], v157, v154 op_sel_hi:[0,0,0] cbsz:4 blgp:4// 000000003A00: D3AC7000 0003359D D3AD8C44 85125958
	buffer_load_dword v160, v176, s[24:27], 0 offen            // 000000003A10: E0501000 8006A0B0
	v_mfma_scale_f32_16x16x128_f8f6f4 a[72:75], v[92:95], v[40:43], a[72:75], v157, v154 op_sel_hi:[0,0,0] cbsz:4 blgp:4// 000000003A18: D3AC6800 0003359D D3AD8C48 8522515C
	s_add_u32 s16, s16, s67                                    // 000000003A28: 80104310
	ds_read_b128 v[80:83], v166 offset:16960                   // 000000003A2C: D9FE4240 500000A6
	v_mfma_scale_f32_16x16x128_f8f6f4 a[76:79], v[92:95], v[44:47], a[76:79], v157, v154 op_sel_hi:[0,0,0] cbsz:4 blgp:4// 000000003A34: D3AC7800 0003359D D3AD8C4C 8532595C
	s_addc_u32 s17, 0, s17                                     // 000000003A44: 82111180
	s_sub_u32 s18, s18, s67                                    // 000000003A48: 80924312
	v_mfma_scale_f32_16x16x128_f8f6f4 a[64:67], v[96:99], v[48:51], a[64:67], v157, v154 op_sel_hi:[0,0,0] cbsz:4 blgp:4// 000000003A4C: D3AC6000 1803359D D3AD8C40 85026160
	s_add_u32 s24, s24, s69                                    // 000000003A5C: 80184518
	ds_read_b128 v[76:79], v166 offset:17408                   // 000000003A60: D9FE4400 4C0000A6
	v_mfma_scale_f32_16x16x128_f8f6f4 a[68:71], v[96:99], v[52:55], a[68:71], v157, v154 op_sel_hi:[0,0,0] cbsz:4 blgp:4// 000000003A68: D3AC7000 1803359D D3AD8C44 85126960
	s_addc_u32 s25, 0, s25                                     // 000000003A78: 82191980
	s_sub_u32 s26, s26, s69                                    // 000000003A7C: 809A451A
	v_mfma_scale_f32_16x16x128_f8f6f4 a[72:75], v[100:103], v[48:51], a[72:75], v157, v154 op_sel_hi:[0,0,0] cbsz:4 blgp:4// 000000003A80: D3AC2800 1803359D D3AD8C48 85226164
	ds_read_b128 v[84:87], v166 offset:17472                   // 000000003A90: D9FE4440 540000A6
	v_mfma_scale_f32_16x16x128_f8f6f4 a[76:79], v[100:103], v[52:55], a[76:79], v157, v154 op_sel_hi:[0,0,0] cbsz:4 blgp:4// 000000003A98: D3AC7800 1803359D D3AD8C4C 85326964
	ds_read_b32 v156, v170 offset:1024                         // 000000003AA8: D86C0400 9C0000AA
	s_waitcnt lgkmcnt(5)                                       // 000000003AB0: BF8CC57F
	s_barrier                                                  // 000000003AB4: BF8A0000
	v_mfma_scale_f32_16x16x128_f8f6f4 a[96:99], v[88:91], v[56:59], a[96:99], v157, v155 op_sel_hi:[0,0,0] cbsz:4 blgp:4// 000000003AB8: D3AC6000 0003379D D3AD8C60 85827158
	v_mfma_scale_f32_16x16x128_f8f6f4 a[100:103], v[88:91], v[60:63], a[100:103], v157, v155 op_sel_hi:[0,0,0] cbsz:4 blgp:4// 000000003AC8: D3AC7000 0003379D D3AD8C64 85927958
	s_add_u32 m0, 0, s65                                       // 000000003AD8: 807C4180
	buffer_load_dword v168, s[20:23], 0 offen lds              // 000000003ADC: E0511000 800500A8
	v_mfma_scale_f32_16x16x128_f8f6f4 a[104:107], v[92:95], v[56:59], a[104:107], v157, v155 op_sel_hi:[0,0,0] cbsz:4 blgp:4// 000000003AE4: D3AC6800 0003379D D3AD8C68 85A2715C
	v_mfma_scale_f32_16x16x128_f8f6f4 a[108:111], v[92:95], v[60:63], a[108:111], v157, v155 op_sel_hi:[0,0,0] cbsz:4 blgp:4// 000000003AF4: D3AC7800 0003379D D3AD8C6C 85B2795C
	v_mfma_scale_f32_16x16x128_f8f6f4 a[96:99], v[96:99], v[64:67], a[96:99], v157, v155 op_sel_hi:[0,0,0] cbsz:4 blgp:4// 000000003B04: D3AC6000 1803379D D3AD8C60 85828160
	v_mfma_scale_f32_16x16x128_f8f6f4 a[100:103], v[96:99], v[68:71], a[100:103], v157, v155 op_sel_hi:[0,0,0] cbsz:4 blgp:4// 000000003B14: D3AC7000 1803379D D3AD8C64 85928960
	s_add_u32 m0, 0x400, s65                                   // 000000003B24: 807C41FF 00000400
	buffer_load_dword v169, s[20:23], 0 offen lds              // 000000003B2C: E0511000 800500A9
	v_mfma_scale_f32_16x16x128_f8f6f4 a[104:107], v[100:103], v[64:67], a[104:107], v157, v155 op_sel_hi:[0,0,0] cbsz:4 blgp:4// 000000003B34: D3AC6800 1803379D D3AD8C68 85A28164
	v_mfma_scale_f32_16x16x128_f8f6f4 a[108:111], v[100:103], v[68:71], a[108:111], v157, v155 op_sel_hi:[0,0,0] cbsz:4 blgp:4// 000000003B44: D3AC7800 1803379D D3AD8C6C 85B28964
	s_waitcnt lgkmcnt(0)                                       // 000000003B54: BF8CC07F
	v_mfma_scale_f32_16x16x128_f8f6f4 a[128:131], v[88:91], v[72:75], a[128:131], v157, v156 op_sel_hi:[0,0,0] cbsz:4 blgp:4// 000000003B58: D3AC6000 0003399D D3AD8C80 86029158
	v_mfma_scale_f32_16x16x128_f8f6f4 a[132:135], v[88:91], v[76:79], a[132:135], v157, v156 op_sel_hi:[0,0,0] cbsz:4 blgp:4// 000000003B68: D3AC7000 0003399D D3AD8C84 86129958
	s_add_u32 m0, 0, s64                                       // 000000003B78: 807C4080
	buffer_load_dwordx4 v161, s[12:15], 0 offen lds            // 000000003B7C: E05D1000 800300A1
	v_mfma_scale_f32_16x16x128_f8f6f4 a[136:139], v[92:95], v[72:75], a[136:139], v157, v156 op_sel_hi:[0,0,0] cbsz:4 blgp:4// 000000003B84: D3AC6800 0003399D D3AD8C88 8622915C
	v_mfma_scale_f32_16x16x128_f8f6f4 a[140:143], v[92:95], v[76:79], a[140:143], v157, v156 op_sel_hi:[0,0,0] cbsz:4 blgp:4// 000000003B94: D3AC5800 0003399D D3AD8C8C 8632995C
	v_mfma_scale_f32_16x16x128_f8f6f4 a[128:131], v[96:99], v[80:83], a[128:131], v157, v156 op_sel_hi:[0,0,0] cbsz:4 blgp:4// 000000003BA4: D3AC6000 1803399D D3AD8C80 8602A160
	v_mfma_scale_f32_16x16x128_f8f6f4 a[132:135], v[96:99], v[84:87], a[132:135], v157, v156 op_sel_hi:[0,0,0] cbsz:4 blgp:4// 000000003BB4: D3AC7000 1803399D D3AD8C84 8612A960
	v_mfma_scale_f32_16x16x128_f8f6f4 a[136:139], v[100:103], v[80:83], a[136:139], v157, v156 op_sel_hi:[0,0,0] cbsz:4 blgp:4// 000000003BC4: D3AC6800 1803399D D3AD8C88 8622A164
	v_mfma_scale_f32_16x16x128_f8f6f4 a[140:143], v[100:103], v[84:87], a[140:143], v157, v156 op_sel_hi:[0,0,0] cbsz:4 blgp:4// 000000003BD4: D3AC7800 1803399D D3AD8C8C 8632A964
	s_waitcnt vmcnt(20)                                        // 000000003BE4: BF8C4F74
	v_mfma_scale_f32_16x16x128_f8f6f4 a[16:19], v[104:107], v[8:11], a[16:19], v158, v152 op_sel_hi:[0,0,0] cbsz:4 blgp:4// 000000003BE8: D3AC6000 0003319E D3AD8C10 84421168
	v_mfma_scale_f32_16x16x128_f8f6f4 a[20:23], v[104:107], v[12:15], a[20:23], v158, v152 op_sel_hi:[0,0,0] cbsz:4 blgp:4// 000000003BF8: D3AC7000 0003319E D3AD8C14 84521968
	s_add_u32 m0, 0x1080, s64                                  // 000000003C08: 807C40FF 00001080
	buffer_load_dwordx4 v162, s[12:15], 0 offen lds            // 000000003C10: E05D1000 800300A2
	v_mfma_scale_f32_16x16x128_f8f6f4 a[24:27], v[108:111], v[8:11], a[24:27], v158, v152 op_sel_hi:[0,0,0] cbsz:4 blgp:4// 000000003C18: D3AC6800 0003319E D3AD8C18 8462116C
	v_mfma_scale_f32_16x16x128_f8f6f4 a[28:31], v[108:111], v[12:15], a[28:31], v158, v152 op_sel_hi:[0,0,0] cbsz:4 blgp:4// 000000003C28: D3AC7800 0003319E D3AD8C1C 8472196C
	v_mfma_scale_f32_16x16x128_f8f6f4 a[16:19], v[112:115], v[16:19], a[16:19], v158, v152 op_sel_hi:[0,0,0] cbsz:4 blgp:4// 000000003C38: D3AC6000 1803319E D3AD8C10 84422170
	v_mfma_scale_f32_16x16x128_f8f6f4 a[20:23], v[112:115], v[20:23], a[20:23], v158, v152 op_sel_hi:[0,0,0] cbsz:4 blgp:4// 000000003C48: D3AC7000 1803319E D3AD8C14 84522970
	s_add_u32 m0, 0x2100, s64                                  // 000000003C58: 807C40FF 00002100
	buffer_load_dwordx4 v163, s[12:15], 0 offen lds            // 000000003C60: E05D1000 800300A3
	v_mfma_scale_f32_16x16x128_f8f6f4 a[24:27], v[116:119], v[16:19], a[24:27], v158, v152 op_sel_hi:[0,0,0] cbsz:4 blgp:4// 000000003C68: D3AC6800 1803319E D3AD8C18 84622174
	v_mfma_scale_f32_16x16x128_f8f6f4 a[28:31], v[116:119], v[20:23], a[28:31], v158, v152 op_sel_hi:[0,0,0] cbsz:4 blgp:4// 000000003C78: D3AC7800 1803319E D3AD8C1C 84722974
	v_mfma_scale_f32_16x16x128_f8f6f4 a[48:51], v[104:107], v[24:27], a[48:51], v158, v153 op_sel_hi:[0,0,0] cbsz:4 blgp:4// 000000003C88: D3AC6000 0003339E D3AD8C30 84C23168
	v_mfma_scale_f32_16x16x128_f8f6f4 a[52:55], v[104:107], v[28:31], a[52:55], v158, v153 op_sel_hi:[0,0,0] cbsz:4 blgp:4// 000000003C98: D3AC3000 0003339E D3AD8C34 84D23968
	s_add_u32 m0, 0x3180, s64                                  // 000000003CA8: 807C40FF 00003180
	buffer_load_dwordx4 v164, s[12:15], 0 offen lds            // 000000003CB0: E05D1000 800300A4
	v_mfma_scale_f32_16x16x128_f8f6f4 a[56:59], v[108:111], v[24:27], a[56:59], v158, v153 op_sel_hi:[0,0,0] cbsz:4 blgp:4// 000000003CB8: D3AC6800 0003339E D3AD8C38 84E2316C
	v_mfma_scale_f32_16x16x128_f8f6f4 a[60:63], v[108:111], v[28:31], a[60:63], v158, v153 op_sel_hi:[0,0,0] cbsz:4 blgp:4// 000000003CC8: D3AC7800 0003339E D3AD8C3C 84F2396C
	v_mfma_scale_f32_16x16x128_f8f6f4 a[48:51], v[112:115], v[32:35], a[48:51], v158, v153 op_sel_hi:[0,0,0] cbsz:4 blgp:4// 000000003CD8: D3AC6000 1803339E D3AD8C30 84C24170
	v_mfma_scale_f32_16x16x128_f8f6f4 a[52:55], v[112:115], v[36:39], a[52:55], v158, v153 op_sel_hi:[0,0,0] cbsz:4 blgp:4// 000000003CE8: D3AC7000 1803339E D3AD8C34 84D24970
	s_add_u32 m0, 0x4200, s64                                  // 000000003CF8: 807C40FF 00004200
	buffer_load_dwordx4 v165, s[12:15], 0 offen lds            // 000000003D00: E05D1000 800300A5
	v_mfma_scale_f32_16x16x128_f8f6f4 a[56:59], v[116:119], v[32:35], a[56:59], v158, v153 op_sel_hi:[0,0,0] cbsz:4 blgp:4// 000000003D08: D3AC4800 1803339E D3AD8C38 84E24174
	s_add_u32 s62, 0x300, s60                                  // 000000003D18: 803E3CFF 00000300
	s_cmp_lt_u32 s62, s61                                      // 000000003D20: BF0A3D3E
	v_mfma_scale_f32_16x16x128_f8f6f4 a[60:63], v[116:119], v[36:39], a[60:63], v158, v153 op_sel_hi:[0,0,0] cbsz:4 blgp:4// 000000003D24: D3AC7800 1803339E D3AD8C3C 84F24974
	s_cselect_b32 s66, s66, 0                                  // 000000003D34: 85428042
	s_cselect_b32 s68, s68, 0                                  // 000000003D38: 85448044
	v_mfma_scale_f32_16x16x128_f8f6f4 a[80:83], v[104:107], v[40:43], a[80:83], v158, v154 op_sel_hi:[0,0,0] cbsz:4 blgp:4// 000000003D3C: D3AC4000 0003359E D3AD8C50 85425168
	s_add_u32 s12, s12, s66                                    // 000000003D4C: 800C420C
	s_addc_u32 s13, 0, s13                                     // 000000003D50: 820D0D80
	v_mfma_scale_f32_16x16x128_f8f6f4 a[84:87], v[104:107], v[44:47], a[84:87], v158, v154 op_sel_hi:[0,0,0] cbsz:4 blgp:4// 000000003D54: D3AC5000 0003359E D3AD8C54 85525968
	s_sub_u32 s14, s14, s66                                    // 000000003D64: 808E420E
	buffer_load_dwordx4 v[88:91], v171, s[16:19], 0 offen      // 000000003D68: E05C1000 800458AB
	v_mfma_scale_f32_16x16x128_f8f6f4 a[88:91], v[108:111], v[40:43], a[88:91], v158, v154 op_sel_hi:[0,0,0] cbsz:4 blgp:4// 000000003D70: D3AC6800 0003359E D3AD8C58 8562516C
	s_add_u32 s20, s20, s68                                    // 000000003D80: 80144414
	s_addc_u32 s21, 0, s21                                     // 000000003D84: 82151580
	v_mfma_scale_f32_16x16x128_f8f6f4 a[92:95], v[108:111], v[44:47], a[92:95], v158, v154 op_sel_hi:[0,0,0] cbsz:4 blgp:4// 000000003D88: D3AC5800 0003359E D3AD8C5C 8572596C
	s_sub_u32 s22, s22, s68                                    // 000000003D98: 80964416
	s_addk_i32 s60, 0x100                                      // 000000003D9C: B73C0100
	v_mfma_scale_f32_16x16x128_f8f6f4 a[80:83], v[112:115], v[48:51], a[80:83], v158, v154 op_sel_hi:[0,0,0] cbsz:4 blgp:4// 000000003DA0: D3AC6000 1803359E D3AD8C50 85426170
	s_cmp_lt_i32 s60, s61                                      // 000000003DB0: BF043D3C
	v_mfma_scale_f32_16x16x128_f8f6f4 a[84:87], v[112:115], v[52:55], a[84:87], v158, v154 op_sel_hi:[0,0,0] cbsz:4 blgp:4// 000000003DB4: D3AC7000 1803359E D3AD8C54 85526970
	buffer_load_dwordx4 v[92:95], v172, s[16:19], 0 offen      // 000000003DC4: E05C1000 80045CAC
	v_mfma_scale_f32_16x16x128_f8f6f4 a[88:91], v[116:119], v[48:51], a[88:91], v158, v154 op_sel_hi:[0,0,0] cbsz:4 blgp:4// 000000003DCC: D3AC6800 1803359E D3AD8C58 85626174
	v_mfma_scale_f32_16x16x128_f8f6f4 a[92:95], v[116:119], v[52:55], a[92:95], v158, v154 op_sel_hi:[0,0,0] cbsz:4 blgp:4// 000000003DDC: D3AC5800 1803359E D3AD8C5C 85726974
	s_waitcnt vmcnt(22)                                        // 000000003DEC: BF8C4F76
	s_barrier                                                  // 000000003DF0: BF8A0000
	v_mfma_scale_f32_16x16x128_f8f6f4 a[112:115], v[104:107], v[56:59], a[112:115], v158, v155 op_sel_hi:[0,0,0] cbsz:4 blgp:4// 000000003DF4: D3AC6000 0003379E D3AD8C70 85C27168
	ds_read_b128 v[8:11], v167                                 // 000000003E04: D9FE0000 080000A7
	v_mfma_scale_f32_16x16x128_f8f6f4 a[116:119], v[104:107], v[60:63], a[116:119], v158, v155 op_sel_hi:[0,0,0] cbsz:4 blgp:4// 000000003E0C: D3AC7000 0003379E D3AD8C74 85D27968
	buffer_load_dwordx4 v[96:99], v171, s[16:19], 0 offen offset:1024// 000000003E1C: E05C1400 800460AB
	v_mfma_scale_f32_16x16x128_f8f6f4 a[120:123], v[108:111], v[56:59], a[120:123], v158, v155 op_sel_hi:[0,0,0] cbsz:4 blgp:4// 000000003E24: D3AC6800 0003379E D3AD8C78 85E2716C
	ds_read_b128 v[16:19], v167 offset:64                      // 000000003E34: D9FE0040 100000A7
	v_mfma_scale_f32_16x16x128_f8f6f4 a[124:127], v[108:111], v[60:63], a[124:127], v158, v155 op_sel_hi:[0,0,0] cbsz:4 blgp:4// 000000003E3C: D3AC7800 0003379E D3AD8C7C 85F2796C
	v_mfma_scale_f32_16x16x128_f8f6f4 a[112:115], v[112:115], v[64:67], a[112:115], v158, v155 op_sel_hi:[0,0,0] cbsz:4 blgp:4// 000000003E4C: D3AC6000 1803379E D3AD8C70 85C28170
	ds_read_b128 v[12:15], v167 offset:512                     // 000000003E5C: D9FE0200 0C0000A7
	v_mfma_scale_f32_16x16x128_f8f6f4 a[116:119], v[112:115], v[68:71], a[116:119], v158, v155 op_sel_hi:[0,0,0] cbsz:4 blgp:4// 000000003E64: D3AC5000 1803379E D3AD8C74 85D28970
	buffer_load_dwordx4 v[100:103], v172, s[16:19], 0 offen offset:1024// 000000003E74: E05C1400 800464AC
	v_mfma_scale_f32_16x16x128_f8f6f4 a[120:123], v[116:119], v[64:67], a[120:123], v158, v155 op_sel_hi:[0,0,0] cbsz:4 blgp:4// 000000003E7C: D3AC6800 1803379E D3AD8C78 85E28174
	ds_read_b128 v[20:23], v167 offset:576                     // 000000003E8C: D9FE0240 140000A7
	v_mfma_scale_f32_16x16x128_f8f6f4 a[124:127], v[116:119], v[68:71], a[124:127], v158, v155 op_sel_hi:[0,0,0] cbsz:4 blgp:4// 000000003E94: D3AC7800 1803379E D3AD8C7C 85F28974
	ds_read_b32 v152, v170 offset:2048                         // 000000003EA4: D86C0800 980000AA
	v_mfma_scale_f32_16x16x128_f8f6f4 a[144:147], v[104:107], v[72:75], a[144:147], v158, v156 op_sel_hi:[0,0,0] cbsz:4 blgp:4// 000000003EAC: D3AC6000 0003399E D3AD8C90 86429168
	ds_read_b128 v[24:27], v167 offset:4224                    // 000000003EBC: D9FE1080 180000A7
	v_mfma_scale_f32_16x16x128_f8f6f4 a[148:151], v[104:107], v[76:79], a[148:151], v158, v156 op_sel_hi:[0,0,0] cbsz:4 blgp:4// 000000003EC4: D3AC7000 0003399E D3AD8C94 86529968
	buffer_load_dword v157, v175, s[24:27], 0 offen            // 000000003ED4: E0501000 80069DAF
	v_mfma_scale_f32_16x16x128_f8f6f4 a[152:155], v[108:111], v[72:75], a[152:155], v158, v156 op_sel_hi:[0,0,0] cbsz:4 blgp:4// 000000003EDC: D3AC6800 0003399E D3AD8C98 8662916C
	ds_read_b128 v[32:35], v167 offset:4288                    // 000000003EEC: D9FE10C0 200000A7
	v_mfma_scale_f32_16x16x128_f8f6f4 a[156:159], v[108:111], v[76:79], a[156:159], v158, v156 op_sel_hi:[0,0,0] cbsz:4 blgp:4// 000000003EF4: D3AC7800 0003399E D3AD8C9C 8672996C
	v_mfma_scale_f32_16x16x128_f8f6f4 a[144:147], v[112:115], v[80:83], a[144:147], v158, v156 op_sel_hi:[0,0,0] cbsz:4 blgp:4// 000000003F04: D3AC6000 1803399E D3AD8C90 8642A170
	ds_read_b128 v[28:31], v167 offset:4736                    // 000000003F14: D9FE1280 1C0000A7
	v_mfma_scale_f32_16x16x128_f8f6f4 a[148:151], v[112:115], v[84:87], a[148:151], v158, v156 op_sel_hi:[0,0,0] cbsz:4 blgp:4// 000000003F1C: D3AC7000 1803399E D3AD8C94 8652A970
	v_mfma_scale_f32_16x16x128_f8f6f4 a[152:155], v[116:119], v[80:83], a[152:155], v158, v156 op_sel_hi:[0,0,0] cbsz:4 blgp:4// 000000003F2C: D3AC6800 1803399E D3AD8C98 8662A174
	ds_read_b128 v[36:39], v167 offset:4800                    // 000000003F3C: D9FE12C0 240000A7
	v_mfma_scale_f32_16x16x128_f8f6f4 a[156:159], v[116:119], v[84:87], a[156:159], v158, v156 op_sel_hi:[0,0,0] cbsz:4 blgp:4// 000000003F44: D3AC7800 1803399E D3AD8C9C 8672A974
	ds_read_b32 v153, v170 offset:2304                         // 000000003F54: D86C0900 990000AA
	s_cbranch_scc0 label_0A27                                  // 000000003F5C: BF84054F
	s_waitcnt vmcnt(17) lgkmcnt(5)                             // 000000003F60: BF8C4571
	s_barrier                                                  // 000000003F64: BF8A0000
	v_mfma_scale_f32_16x16x128_f8f6f4 a[0:3], v[120:123], v[8:11], a[0:3], v159, v152 op_sel_hi:[0,0,0] cbsz:4 blgp:4// 000000003F68: D3AC6000 0003319F D3AD8C00 84021178
	s_add_u32 s63, 0x200, s60                                  // 000000003F78: 803F3CFF 00000200
	ds_read_b128 v[40:43], v167 offset:8448                    // 000000003F80: D9FE2100 280000A7
	v_mfma_scale_f32_16x16x128_f8f6f4 a[4:7], v[120:123], v[12:15], a[4:7], v159, v152 op_sel_hi:[0,0,0] cbsz:4 blgp:4// 000000003F88: D3AC7000 0003319F D3AD8C04 84121978
	s_cmp_lt_u32 s63, s61                                      // 000000003F98: BF0A3D3F
	buffer_load_dwordx4 v[104:107], v173, s[16:19], 0 offen    // 000000003F9C: E05C1000 800468AD
	v_mfma_scale_f32_16x16x128_f8f6f4 a[8:11], v[124:127], v[8:11], a[8:11], v159, v152 op_sel_hi:[0,0,0] cbsz:4 blgp:4// 000000003FA4: D3AC6800 0003319F D3AD8C08 8422117C
	s_cselect_b32 s67, s67, 0                                  // 000000003FB4: 85438043
	ds_read_b128 v[48:51], v167 offset:8512                    // 000000003FB8: D9FE2140 300000A7
	v_mfma_scale_f32_16x16x128_f8f6f4 a[12:15], v[124:127], v[12:15], a[12:15], v159, v152 op_sel_hi:[0,0,0] cbsz:4 blgp:4// 000000003FC0: D3AC7800 0003319F D3AD8C0C 8432197C
	s_cselect_b32 s69, s69, 0                                  // 000000003FD0: 85458045
	v_mfma_scale_f32_16x16x128_f8f6f4 a[0:3], v[128:131], v[16:19], a[0:3], v159, v152 op_sel_hi:[0,0,0] cbsz:4 blgp:4// 000000003FD4: D3AC6000 1803319F D3AD8C00 84022180
	ds_read_b128 v[44:47], v167 offset:8960                    // 000000003FE4: D9FE2300 2C0000A7
	v_mfma_scale_f32_16x16x128_f8f6f4 a[4:7], v[128:131], v[20:23], a[4:7], v159, v152 op_sel_hi:[0,0,0] cbsz:4 blgp:4// 000000003FEC: D3AC7000 1803319F D3AD8C04 84122980
	buffer_load_dwordx4 v[108:111], v174, s[16:19], 0 offen    // 000000003FFC: E05C1000 80046CAE
	v_mfma_scale_f32_16x16x128_f8f6f4 a[8:11], v[132:135], v[16:19], a[8:11], v159, v152 op_sel_hi:[0,0,0] cbsz:4 blgp:4// 000000004004: D3AC6800 1803319F D3AD8C08 84222184
	ds_read_b128 v[52:55], v167 offset:9024                    // 000000004014: D9FE2340 340000A7
	v_mfma_scale_f32_16x16x128_f8f6f4 a[12:15], v[132:135], v[20:23], a[12:15], v159, v152 op_sel_hi:[0,0,0] cbsz:4 blgp:4// 00000000401C: D3AC7800 1803319F D3AD8C0C 84322984
	ds_read_b32 v154, v170 offset:2560                         // 00000000402C: D86C0A00 9A0000AA
	s_waitcnt lgkmcnt(5)                                       // 000000004034: BF8CC57F
	v_mfma_scale_f32_16x16x128_f8f6f4 a[32:35], v[120:123], v[24:27], a[32:35], v159, v153 op_sel_hi:[0,0,0] cbsz:4 blgp:4// 000000004038: D3AC2000 0003339F D3AD8C20 84823178
	ds_read_b128 v[56:59], v167 offset:12672                   // 000000004048: D9FE3180 380000A7
	v_mfma_scale_f32_16x16x128_f8f6f4 a[36:39], v[120:123], v[28:31], a[36:39], v159, v153 op_sel_hi:[0,0,0] cbsz:4 blgp:4// 000000004050: D3AC7000 0003339F D3AD8C24 84923978
	buffer_load_dwordx4 v[112:115], v173, s[16:19], 0 offen offset:1024// 000000004060: E05C1400 800470AD
	v_mfma_scale_f32_16x16x128_f8f6f4 a[40:43], v[124:127], v[24:27], a[40:43], v159, v153 op_sel_hi:[0,0,0] cbsz:4 blgp:4// 000000004068: D3AC6800 0003339F D3AD8C28 84A2317C
	ds_read_b128 v[64:67], v167 offset:12736                   // 000000004078: D9FE31C0 400000A7
	v_mfma_scale_f32_16x16x128_f8f6f4 a[44:47], v[124:127], v[28:31], a[44:47], v159, v153 op_sel_hi:[0,0,0] cbsz:4 blgp:4// 000000004080: D3AC7800 0003339F D3AD8C2C 84B2397C
	v_mfma_scale_f32_16x16x128_f8f6f4 a[32:35], v[128:131], v[32:35], a[32:35], v159, v153 op_sel_hi:[0,0,0] cbsz:4 blgp:4// 000000004090: D3AC6000 1803339F D3AD8C20 84824180
	ds_read_b128 v[60:63], v167 offset:13184                   // 0000000040A0: D9FE3380 3C0000A7
	v_mfma_scale_f32_16x16x128_f8f6f4 a[36:39], v[128:131], v[36:39], a[36:39], v159, v153 op_sel_hi:[0,0,0] cbsz:4 blgp:4// 0000000040A8: D3AC7000 1803339F D3AD8C24 84924980
	buffer_load_dwordx4 v[116:119], v174, s[16:19], 0 offen offset:1024// 0000000040B8: E05C1400 800474AE
	v_mfma_scale_f32_16x16x128_f8f6f4 a[40:43], v[132:135], v[32:35], a[40:43], v159, v153 op_sel_hi:[0,0,0] cbsz:4 blgp:4// 0000000040C0: D3AC6800 1803339F D3AD8C28 84A24184
	ds_read_b128 v[68:71], v167 offset:13248                   // 0000000040D0: D9FE33C0 440000A7
	v_mfma_scale_f32_16x16x128_f8f6f4 a[44:47], v[132:135], v[36:39], a[44:47], v159, v153 op_sel_hi:[0,0,0] cbsz:4 blgp:4// 0000000040D8: D3AC7800 1803339F D3AD8C2C 84B24984
	ds_read_b32 v155, v170 offset:2816                         // 0000000040E8: D86C0B00 9B0000AA
	s_waitcnt lgkmcnt(5)                                       // 0000000040F0: BF8CC57F
	v_mfma_scale_f32_16x16x128_f8f6f4 a[64:67], v[120:123], v[40:43], a[64:67], v159, v154 op_sel_hi:[0,0,0] cbsz:4 blgp:4// 0000000040F4: D3AC6000 0003359F D3AD8C40 85025178
	ds_read_b128 v[72:75], v167 offset:16896                   // 000000004104: D9FE4200 480000A7
	v_mfma_scale_f32_16x16x128_f8f6f4 a[68:71], v[120:123], v[44:47], a[68:71], v159, v154 op_sel_hi:[0,0,0] cbsz:4 blgp:4// 00000000410C: D3AC7000 0003359F D3AD8C44 85125978
	buffer_load_dword v158, v176, s[24:27], 0 offen            // 00000000411C: E0501000 80069EB0
	v_mfma_scale_f32_16x16x128_f8f6f4 a[72:75], v[124:127], v[40:43], a[72:75], v159, v154 op_sel_hi:[0,0,0] cbsz:4 blgp:4// 000000004124: D3AC6800 0003359F D3AD8C48 8522517C
	s_add_u32 s16, s16, s67                                    // 000000004134: 80104310
	ds_read_b128 v[80:83], v167 offset:16960                   // 000000004138: D9FE4240 500000A7
	v_mfma_scale_f32_16x16x128_f8f6f4 a[76:79], v[124:127], v[44:47], a[76:79], v159, v154 op_sel_hi:[0,0,0] cbsz:4 blgp:4// 000000004140: D3AC7800 0003359F D3AD8C4C 8532597C
	s_addc_u32 s17, 0, s17                                     // 000000004150: 82111180
	s_sub_u32 s18, s18, s67                                    // 000000004154: 80924312
	v_mfma_scale_f32_16x16x128_f8f6f4 a[64:67], v[128:131], v[48:51], a[64:67], v159, v154 op_sel_hi:[0,0,0] cbsz:4 blgp:4// 000000004158: D3AC6000 1803359F D3AD8C40 85026180
	s_add_u32 s24, s24, s69                                    // 000000004168: 80184518
	ds_read_b128 v[76:79], v167 offset:17408                   // 00000000416C: D9FE4400 4C0000A7
	v_mfma_scale_f32_16x16x128_f8f6f4 a[68:71], v[128:131], v[52:55], a[68:71], v159, v154 op_sel_hi:[0,0,0] cbsz:4 blgp:4// 000000004174: D3AC7000 1803359F D3AD8C44 85126980
	s_addc_u32 s25, 0, s25                                     // 000000004184: 82191980
	s_sub_u32 s26, s26, s69                                    // 000000004188: 809A451A
	v_mfma_scale_f32_16x16x128_f8f6f4 a[72:75], v[132:135], v[48:51], a[72:75], v159, v154 op_sel_hi:[0,0,0] cbsz:4 blgp:4// 00000000418C: D3AC6800 1803359F D3AD8C48 85226184
	ds_read_b128 v[84:87], v167 offset:17472                   // 00000000419C: D9FE4440 540000A7
	v_mfma_scale_f32_16x16x128_f8f6f4 a[76:79], v[132:135], v[52:55], a[76:79], v159, v154 op_sel_hi:[0,0,0] cbsz:4 blgp:4// 0000000041A4: D3AC7800 1803359F D3AD8C4C 85326984
	ds_read_b32 v156, v170 offset:3072                         // 0000000041B4: D86C0C00 9C0000AA
	s_waitcnt lgkmcnt(5)                                       // 0000000041BC: BF8CC57F
	s_barrier                                                  // 0000000041C0: BF8A0000
	v_mfma_scale_f32_16x16x128_f8f6f4 a[96:99], v[120:123], v[56:59], a[96:99], v159, v155 op_sel_hi:[0,0,0] cbsz:4 blgp:4// 0000000041C4: D3AC6000 0003379F D3AD8C60 85827178
	v_mfma_scale_f32_16x16x128_f8f6f4 a[100:103], v[120:123], v[60:63], a[100:103], v159, v155 op_sel_hi:[0,0,0] cbsz:4 blgp:4// 0000000041D4: D3AC7000 0003379F D3AD8C64 85927978
	s_add_u32 m0, 0x800, s65                                   // 0000000041E4: 807C41FF 00000800
	buffer_load_dword v168, s[20:23], 0 offen lds              // 0000000041EC: E0511000 800500A8
	v_mfma_scale_f32_16x16x128_f8f6f4 a[104:107], v[124:127], v[56:59], a[104:107], v159, v155 op_sel_hi:[0,0,0] cbsz:4 blgp:4// 0000000041F4: D3AC6800 0003379F D3AD8C68 85A2717C
	v_mfma_scale_f32_16x16x128_f8f6f4 a[108:111], v[124:127], v[60:63], a[108:111], v159, v155 op_sel_hi:[0,0,0] cbsz:4 blgp:4// 000000004204: D3AC7800 0003379F D3AD8C6C 85B2797C
	v_mfma_scale_f32_16x16x128_f8f6f4 a[96:99], v[128:131], v[64:67], a[96:99], v159, v155 op_sel_hi:[0,0,0] cbsz:4 blgp:4// 000000004214: D3AC6000 1803379F D3AD8C60 85828180
	v_mfma_scale_f32_16x16x128_f8f6f4 a[100:103], v[128:131], v[68:71], a[100:103], v159, v155 op_sel_hi:[0,0,0] cbsz:4 blgp:4// 000000004224: D3AC7000 1803379F D3AD8C64 85928980
	s_add_u32 m0, 0xc00, s65                                   // 000000004234: 807C41FF 00000C00
	buffer_load_dword v169, s[20:23], 0 offen lds              // 00000000423C: E0511000 800500A9
	v_mfma_scale_f32_16x16x128_f8f6f4 a[104:107], v[132:135], v[64:67], a[104:107], v159, v155 op_sel_hi:[0,0,0] cbsz:4 blgp:4// 000000004244: D3AC6800 1803379F D3AD8C68 85A28184
	v_mfma_scale_f32_16x16x128_f8f6f4 a[108:111], v[132:135], v[68:71], a[108:111], v159, v155 op_sel_hi:[0,0,0] cbsz:4 blgp:4// 000000004254: D3AC7800 1803379F D3AD8C6C 85B28984
	s_waitcnt lgkmcnt(0)                                       // 000000004264: BF8CC07F
	v_mfma_scale_f32_16x16x128_f8f6f4 a[128:131], v[120:123], v[72:75], a[128:131], v159, v156 op_sel_hi:[0,0,0] cbsz:4 blgp:4// 000000004268: D3AC6000 0003399F D3AD8C80 86029178
	v_mfma_scale_f32_16x16x128_f8f6f4 a[132:135], v[120:123], v[76:79], a[132:135], v159, v156 op_sel_hi:[0,0,0] cbsz:4 blgp:4// 000000004278: D3AC7000 0003399F D3AD8C84 86129978
	s_add_u32 m0, 0x5280, s64                                  // 000000004288: 807C40FF 00005280
	buffer_load_dwordx4 v161, s[12:15], 0 offen lds            // 000000004290: E05D1000 800300A1
	v_mfma_scale_f32_16x16x128_f8f6f4 a[136:139], v[124:127], v[72:75], a[136:139], v159, v156 op_sel_hi:[0,0,0] cbsz:4 blgp:4// 000000004298: D3AC6800 0003399F D3AD8C88 8622917C
	v_mfma_scale_f32_16x16x128_f8f6f4 a[140:143], v[124:127], v[76:79], a[140:143], v159, v156 op_sel_hi:[0,0,0] cbsz:4 blgp:4// 0000000042A8: D3AC7800 0003399F D3AD8C8C 8632997C
	v_mfma_scale_f32_16x16x128_f8f6f4 a[128:131], v[128:131], v[80:83], a[128:131], v159, v156 op_sel_hi:[0,0,0] cbsz:4 blgp:4// 0000000042B8: D3AC6000 1803399F D3AD8C80 8602A180
	v_mfma_scale_f32_16x16x128_f8f6f4 a[132:135], v[128:131], v[84:87], a[132:135], v159, v156 op_sel_hi:[0,0,0] cbsz:4 blgp:4// 0000000042C8: D3AC7000 1803399F D3AD8C84 8612A980
	v_mfma_scale_f32_16x16x128_f8f6f4 a[136:139], v[132:135], v[80:83], a[136:139], v159, v156 op_sel_hi:[0,0,0] cbsz:4 blgp:4// 0000000042D8: D3AC6800 1803399F D3AD8C88 8622A184
	v_mfma_scale_f32_16x16x128_f8f6f4 a[140:143], v[132:135], v[84:87], a[140:143], v159, v156 op_sel_hi:[0,0,0] cbsz:4 blgp:4// 0000000042E8: D3AC7800 1803399F D3AD8C8C 8632A984
	s_waitcnt vmcnt(20)                                        // 0000000042F8: BF8C4F74
	v_mfma_scale_f32_16x16x128_f8f6f4 a[16:19], v[136:139], v[8:11], a[16:19], v160, v152 op_sel_hi:[0,0,0] cbsz:4 blgp:4// 0000000042FC: D3AC6000 000331A0 D3AD8C10 84421188
	v_mfma_scale_f32_16x16x128_f8f6f4 a[20:23], v[136:139], v[12:15], a[20:23], v160, v152 op_sel_hi:[0,0,0] cbsz:4 blgp:4// 00000000430C: D3AC7000 000331A0 D3AD8C14 84521988
	s_add_u32 m0, 0x6300, s64                                  // 00000000431C: 807C40FF 00006300
	buffer_load_dwordx4 v162, s[12:15], 0 offen lds            // 000000004324: E05D1000 800300A2
	v_mfma_scale_f32_16x16x128_f8f6f4 a[24:27], v[140:143], v[8:11], a[24:27], v160, v152 op_sel_hi:[0,0,0] cbsz:4 blgp:4// 00000000432C: D3AC6800 000331A0 D3AD8C18 8462118C
	v_mfma_scale_f32_16x16x128_f8f6f4 a[28:31], v[140:143], v[12:15], a[28:31], v160, v152 op_sel_hi:[0,0,0] cbsz:4 blgp:4// 00000000433C: D3AC7800 000331A0 D3AD8C1C 8472198C
	v_mfma_scale_f32_16x16x128_f8f6f4 a[16:19], v[144:147], v[16:19], a[16:19], v160, v152 op_sel_hi:[0,0,0] cbsz:4 blgp:4// 00000000434C: D3AC6000 180331A0 D3AD8C10 84422190
	v_mfma_scale_f32_16x16x128_f8f6f4 a[20:23], v[144:147], v[20:23], a[20:23], v160, v152 op_sel_hi:[0,0,0] cbsz:4 blgp:4// 00000000435C: D3AC7000 180331A0 D3AD8C14 84522990
	s_add_u32 m0, 0x7380, s64                                  // 00000000436C: 807C40FF 00007380
	buffer_load_dwordx4 v163, s[12:15], 0 offen lds            // 000000004374: E05D1000 800300A3
	v_mfma_scale_f32_16x16x128_f8f6f4 a[24:27], v[148:151], v[16:19], a[24:27], v160, v152 op_sel_hi:[0,0,0] cbsz:4 blgp:4// 00000000437C: D3AC6800 180331A0 D3AD8C18 84622194
	v_mfma_scale_f32_16x16x128_f8f6f4 a[28:31], v[148:151], v[20:23], a[28:31], v160, v152 op_sel_hi:[0,0,0] cbsz:4 blgp:4// 00000000438C: D3AC7800 180331A0 D3AD8C1C 84722994
	v_mfma_scale_f32_16x16x128_f8f6f4 a[48:51], v[136:139], v[24:27], a[48:51], v160, v153 op_sel_hi:[0,0,0] cbsz:4 blgp:4// 00000000439C: D3AC6000 000333A0 D3AD8C30 84C23188
	v_mfma_scale_f32_16x16x128_f8f6f4 a[52:55], v[136:139], v[28:31], a[52:55], v160, v153 op_sel_hi:[0,0,0] cbsz:4 blgp:4// 0000000043AC: D3AC7000 000333A0 D3AD8C34 84D23988
	s_add_u32 m0, 0x8400, s64                                  // 0000000043BC: 807C40FF 00008400
	buffer_load_dwordx4 v164, s[12:15], 0 offen lds            // 0000000043C4: E05D1000 800300A4
	v_mfma_scale_f32_16x16x128_f8f6f4 a[56:59], v[140:143], v[24:27], a[56:59], v160, v153 op_sel_hi:[0,0,0] cbsz:4 blgp:4// 0000000043CC: D3AC6800 000333A0 D3AD8C38 84E2318C
	v_mfma_scale_f32_16x16x128_f8f6f4 a[60:63], v[140:143], v[28:31], a[60:63], v160, v153 op_sel_hi:[0,0,0] cbsz:4 blgp:4// 0000000043DC: D3AC7800 000333A0 D3AD8C3C 84F2398C
	v_mfma_scale_f32_16x16x128_f8f6f4 a[48:51], v[144:147], v[32:35], a[48:51], v160, v153 op_sel_hi:[0,0,0] cbsz:4 blgp:4// 0000000043EC: D3AC6000 180333A0 D3AD8C30 84C24190
	v_mfma_scale_f32_16x16x128_f8f6f4 a[52:55], v[144:147], v[36:39], a[52:55], v160, v153 op_sel_hi:[0,0,0] cbsz:4 blgp:4// 0000000043FC: D3AC7000 180333A0 D3AD8C34 84D24990
	s_add_u32 m0, 0x9480, s64                                  // 00000000440C: 807C40FF 00009480
	buffer_load_dwordx4 v165, s[12:15], 0 offen lds            // 000000004414: E05D1000 800300A5
	v_mfma_scale_f32_16x16x128_f8f6f4 a[56:59], v[148:151], v[32:35], a[56:59], v160, v153 op_sel_hi:[0,0,0] cbsz:4 blgp:4// 00000000441C: D3AC6800 180333A0 D3AD8C38 84E24194
	s_add_u32 s62, 0x300, s60                                  // 00000000442C: 803E3CFF 00000300
	s_cmp_lt_u32 s62, s61                                      // 000000004434: BF0A3D3E
	v_mfma_scale_f32_16x16x128_f8f6f4 a[60:63], v[148:151], v[36:39], a[60:63], v160, v153 op_sel_hi:[0,0,0] cbsz:4 blgp:4// 000000004438: D3AC7800 180333A0 D3AD8C3C 84F24994
	s_cselect_b32 s66, s66, 0                                  // 000000004448: 85428042
	s_cselect_b32 s68, s68, 0                                  // 00000000444C: 85448044
	v_mfma_scale_f32_16x16x128_f8f6f4 a[80:83], v[136:139], v[40:43], a[80:83], v160, v154 op_sel_hi:[0,0,0] cbsz:4 blgp:4// 000000004450: D3AC6000 000335A0 D3AD8C50 85425188
	s_add_u32 s12, s12, s66                                    // 000000004460: 800C420C
	s_addc_u32 s13, 0, s13                                     // 000000004464: 820D0D80
	v_mfma_scale_f32_16x16x128_f8f6f4 a[84:87], v[136:139], v[44:47], a[84:87], v160, v154 op_sel_hi:[0,0,0] cbsz:4 blgp:4// 000000004468: D3AC7000 000335A0 D3AD8C54 85525988
	s_sub_u32 s14, s14, s66                                    // 000000004478: 808E420E
	buffer_load_dwordx4 v[120:123], v171, s[16:19], 0 offen    // 00000000447C: E05C1000 800478AB
	v_mfma_scale_f32_16x16x128_f8f6f4 a[88:91], v[140:143], v[40:43], a[88:91], v160, v154 op_sel_hi:[0,0,0] cbsz:4 blgp:4// 000000004484: D3AC6800 000335A0 D3AD8C58 8562518C
	s_add_u32 s20, s20, s68                                    // 000000004494: 80144414
	s_addc_u32 s21, 0, s21                                     // 000000004498: 82151580
	v_mfma_scale_f32_16x16x128_f8f6f4 a[92:95], v[140:143], v[44:47], a[92:95], v160, v154 op_sel_hi:[0,0,0] cbsz:4 blgp:4// 00000000449C: D3AC7800 000335A0 D3AD8C5C 8572598C
	s_sub_u32 s22, s22, s68                                    // 0000000044AC: 80964416
	s_addk_i32 s60, 0x100                                      // 0000000044B0: B73C0100
	v_mfma_scale_f32_16x16x128_f8f6f4 a[80:83], v[144:147], v[48:51], a[80:83], v160, v154 op_sel_hi:[0,0,0] cbsz:4 blgp:4// 0000000044B4: D3AC6000 180335A0 D3AD8C50 85426190
	s_cmp_lt_i32 s60, s61                                      // 0000000044C4: BF043D3C
	v_mfma_scale_f32_16x16x128_f8f6f4 a[84:87], v[144:147], v[52:55], a[84:87], v160, v154 op_sel_hi:[0,0,0] cbsz:4 blgp:4// 0000000044C8: D3AC7000 180335A0 D3AD8C54 85526990
	buffer_load_dwordx4 v[124:127], v172, s[16:19], 0 offen    // 0000000044D8: E05C1000 80047CAC
	v_mfma_scale_f32_16x16x128_f8f6f4 a[88:91], v[148:151], v[48:51], a[88:91], v160, v154 op_sel_hi:[0,0,0] cbsz:4 blgp:4// 0000000044E0: D3AC6800 180335A0 D3AD8C58 85626194
	v_mfma_scale_f32_16x16x128_f8f6f4 a[92:95], v[148:151], v[52:55], a[92:95], v160, v154 op_sel_hi:[0,0,0] cbsz:4 blgp:4// 0000000044F0: D3AC7800 180335A0 D3AD8C5C 85726994
	s_waitcnt vmcnt(22)                                        // 000000004500: BF8C4F76
	s_barrier                                                  // 000000004504: BF8A0000
	v_mfma_scale_f32_16x16x128_f8f6f4 a[112:115], v[136:139], v[56:59], a[112:115], v160, v155 op_sel_hi:[0,0,0] cbsz:4 blgp:4// 000000004508: D3AC6000 000337A0 D3AD8C70 85C27188
	ds_read_b128 v[8:11], v166                                 // 000000004518: D9FE0000 080000A6
	v_mfma_scale_f32_16x16x128_f8f6f4 a[116:119], v[136:139], v[60:63], a[116:119], v160, v155 op_sel_hi:[0,0,0] cbsz:4 blgp:4// 000000004520: D3AC7000 000337A0 D3AD8C74 85D27988
	buffer_load_dwordx4 v[128:131], v171, s[16:19], 0 offen offset:1024// 000000004530: E05C1400 800480AB
	v_mfma_scale_f32_16x16x128_f8f6f4 a[120:123], v[140:143], v[56:59], a[120:123], v160, v155 op_sel_hi:[0,0,0] cbsz:4 blgp:4// 000000004538: D3AC6800 000337A0 D3AD8C78 85E2718C
	ds_read_b128 v[16:19], v166 offset:64                      // 000000004548: D9FE0040 100000A6
	v_mfma_scale_f32_16x16x128_f8f6f4 a[124:127], v[140:143], v[60:63], a[124:127], v160, v155 op_sel_hi:[0,0,0] cbsz:4 blgp:4// 000000004550: D3AC7800 000337A0 D3AD8C7C 85F2798C
	v_mfma_scale_f32_16x16x128_f8f6f4 a[112:115], v[144:147], v[64:67], a[112:115], v160, v155 op_sel_hi:[0,0,0] cbsz:4 blgp:4// 000000004560: D3AC6000 180337A0 D3AD8C70 85C28190
	ds_read_b128 v[12:15], v166 offset:512                     // 000000004570: D9FE0200 0C0000A6
	v_mfma_scale_f32_16x16x128_f8f6f4 a[116:119], v[144:147], v[68:71], a[116:119], v160, v155 op_sel_hi:[0,0,0] cbsz:4 blgp:4// 000000004578: D3AC7000 180337A0 D3AD8C74 85D28990
	buffer_load_dwordx4 v[132:135], v172, s[16:19], 0 offen offset:1024// 000000004588: E05C1400 800484AC
	v_mfma_scale_f32_16x16x128_f8f6f4 a[120:123], v[148:151], v[64:67], a[120:123], v160, v155 op_sel_hi:[0,0,0] cbsz:4 blgp:4// 000000004590: D3AC6800 180337A0 D3AD8C78 85E28194
	ds_read_b128 v[20:23], v166 offset:576                     // 0000000045A0: D9FE0240 140000A6
	v_mfma_scale_f32_16x16x128_f8f6f4 a[124:127], v[148:151], v[68:71], a[124:127], v160, v155 op_sel_hi:[0,0,0] cbsz:4 blgp:4// 0000000045A8: D3AC7800 180337A0 D3AD8C7C 85F28994
	ds_read_b32 v152, v170                                     // 0000000045B8: D86C0000 980000AA
	v_mfma_scale_f32_16x16x128_f8f6f4 a[144:147], v[136:139], v[72:75], a[144:147], v160, v156 op_sel_hi:[0,0,0] cbsz:4 blgp:4// 0000000045C0: D3AC6000 000339A0 D3AD8C90 86429188
	ds_read_b128 v[24:27], v166 offset:4224                    // 0000000045D0: D9FE1080 180000A6
	v_mfma_scale_f32_16x16x128_f8f6f4 a[148:151], v[136:139], v[76:79], a[148:151], v160, v156 op_sel_hi:[0,0,0] cbsz:4 blgp:4// 0000000045D8: D3AC7000 000339A0 D3AD8C94 86529988
	buffer_load_dword v159, v175, s[24:27], 0 offen            // 0000000045E8: E0501000 80069FAF
	v_mfma_scale_f32_16x16x128_f8f6f4 a[152:155], v[140:143], v[72:75], a[152:155], v160, v156 op_sel_hi:[0,0,0] cbsz:4 blgp:4// 0000000045F0: D3AC6800 000339A0 D3AD8C98 8662918C
	ds_read_b128 v[32:35], v166 offset:4288                    // 000000004600: D9FE10C0 200000A6
	v_mfma_scale_f32_16x16x128_f8f6f4 a[156:159], v[140:143], v[76:79], a[156:159], v160, v156 op_sel_hi:[0,0,0] cbsz:4 blgp:4// 000000004608: D3AC7800 000339A0 D3AD8C9C 8672998C
	v_mfma_scale_f32_16x16x128_f8f6f4 a[144:147], v[144:147], v[80:83], a[144:147], v160, v156 op_sel_hi:[0,0,0] cbsz:4 blgp:4// 000000004618: D3AC6000 180339A0 D3AD8C90 8642A190
	ds_read_b128 v[28:31], v166 offset:4736                    // 000000004628: D9FE1280 1C0000A6
	v_mfma_scale_f32_16x16x128_f8f6f4 a[148:151], v[144:147], v[84:87], a[148:151], v160, v156 op_sel_hi:[0,0,0] cbsz:4 blgp:4// 000000004630: D3AC7000 180339A0 D3AD8C94 8652A990
	v_mfma_scale_f32_16x16x128_f8f6f4 a[152:155], v[148:151], v[80:83], a[152:155], v160, v156 op_sel_hi:[0,0,0] cbsz:4 blgp:4// 000000004640: D3AC6800 180339A0 D3AD8C98 8662A194
	ds_read_b128 v[36:39], v166 offset:4800                    // 000000004650: D9FE12C0 240000A6
	v_mfma_scale_f32_16x16x128_f8f6f4 a[156:159], v[148:151], v[84:87], a[156:159], v160, v156 op_sel_hi:[0,0,0] cbsz:4 blgp:4// 000000004658: D3AC7800 180339A0 D3AD8C9C 8672A994
	ds_read_b32 v153, v170 offset:256                          // 000000004668: D86C0100 990000AA
	s_cbranch_scc0 label_0A27                                  // 000000004670: BF84038A
	s_branch label_0315                                        // 000000004674: BF82FC77

0000000000004678 <label_069E>:
	s_waitcnt vmcnt(17) lgkmcnt(5)                             // 000000004678: BF8C4571
	s_barrier                                                  // 00000000467C: BF8A0000
	v_mfma_scale_f32_16x16x128_f8f6f4 a[0:3], v[88:91], v[8:11], a[0:3], v157, v152 op_sel_hi:[0,0,0] cbsz:4 blgp:4// 000000004680: D3AC6000 0003319D D3AD8C00 84021158
	s_add_u32 s63, 0x200, s60                                  // 000000004690: 803F3CFF 00000200
	buffer_load_dwordx4 v[136:139], v173, s[16:19], 0 offen    // 000000004698: E05C1000 800488AD
	v_mfma_scale_f32_16x16x128_f8f6f4 a[4:7], v[88:91], v[12:15], a[4:7], v157, v152 op_sel_hi:[0,0,0] cbsz:4 blgp:4// 0000000046A0: D3AC7000 0003319D D3AD8C04 84121958
	s_cmp_lt_u32 s63, s61                                      // 0000000046B0: BF0A3D3F
	ds_read_b128 v[40:43], v166 offset:8448                    // 0000000046B4: D9FE2100 280000A6
	v_mfma_scale_f32_16x16x128_f8f6f4 a[8:11], v[92:95], v[8:11], a[8:11], v157, v152 op_sel_hi:[0,0,0] cbsz:4 blgp:4// 0000000046BC: D3AC6800 0003319D D3AD8C08 8422115C
	s_cselect_b32 s67, s67, 0                                  // 0000000046CC: 85438043
	s_cselect_b32 s69, s69, 0                                  // 0000000046D0: 85458045
	v_mfma_scale_f32_16x16x128_f8f6f4 a[12:15], v[92:95], v[12:15], a[12:15], v157, v152 op_sel_hi:[0,0,0] cbsz:4 blgp:4// 0000000046D4: D3AC7800 0003319D D3AD8C0C 8432195C
	ds_read_b128 v[48:51], v166 offset:8512                    // 0000000046E4: D9FE2140 300000A6
	v_mfma_scale_f32_16x16x128_f8f6f4 a[0:3], v[96:99], v[16:19], a[0:3], v157, v152 op_sel_hi:[0,0,0] cbsz:4 blgp:4// 0000000046EC: D3AC6000 1803319D D3AD8C00 84022160
	buffer_load_dwordx4 v[140:143], v174, s[16:19], 0 offen    // 0000000046FC: E05C1000 80048CAE
	v_mfma_scale_f32_16x16x128_f8f6f4 a[4:7], v[96:99], v[20:23], a[4:7], v157, v152 op_sel_hi:[0,0,0] cbsz:4 blgp:4// 000000004704: D3AC7000 1803319D D3AD8C04 84122960
	ds_read_b128 v[44:47], v166 offset:8960                    // 000000004714: D9FE2300 2C0000A6
	v_mfma_scale_f32_16x16x128_f8f6f4 a[8:11], v[100:103], v[16:19], a[8:11], v157, v152 op_sel_hi:[0,0,0] cbsz:4 blgp:4// 00000000471C: D3AC6800 1803319D D3AD8C08 84222164
	v_mfma_scale_f32_16x16x128_f8f6f4 a[12:15], v[100:103], v[20:23], a[12:15], v157, v152 op_sel_hi:[0,0,0] cbsz:4 blgp:4// 00000000472C: D3AC7800 1803319D D3AD8C0C 84322964
	ds_read_b128 v[52:55], v166 offset:9024                    // 00000000473C: D9FE2340 340000A6
	ds_read_b32 v154, v170 offset:512                          // 000000004744: D86C0200 9A0000AA
	s_waitcnt lgkmcnt(5)                                       // 00000000474C: BF8CC57F
	v_mfma_scale_f32_16x16x128_f8f6f4 a[32:35], v[88:91], v[24:27], a[32:35], v157, v153 op_sel_hi:[0,0,0] cbsz:4 blgp:4// 000000004750: D3AC6000 0003339D D3AD8C20 84823158
	buffer_load_dwordx4 v[144:147], v173, s[16:19], 0 offen offset:1024// 000000004760: E05C1400 800490AD
	v_mfma_scale_f32_16x16x128_f8f6f4 a[36:39], v[88:91], v[28:31], a[36:39], v157, v153 op_sel_hi:[0,0,0] cbsz:4 blgp:4// 000000004768: D3AC1000 0003339D D3AD8C24 84923958
	ds_read_b128 v[56:59], v166 offset:12672                   // 000000004778: D9FE3180 380000A6
	v_mfma_scale_f32_16x16x128_f8f6f4 a[40:43], v[92:95], v[24:27], a[40:43], v157, v153 op_sel_hi:[0,0,0] cbsz:4 blgp:4// 000000004780: D3AC0800 0003339D D3AD8C28 84A2315C
	v_mfma_scale_f32_16x16x128_f8f6f4 a[44:47], v[92:95], v[28:31], a[44:47], v157, v153 op_sel_hi:[0,0,0] cbsz:4 blgp:4// 000000004790: D3AC7800 0003339D D3AD8C2C 84B2395C
	ds_read_b128 v[64:67], v166 offset:12736                   // 0000000047A0: D9FE31C0 400000A6
	v_mfma_scale_f32_16x16x128_f8f6f4 a[32:35], v[96:99], v[32:35], a[32:35], v157, v153 op_sel_hi:[0,0,0] cbsz:4 blgp:4// 0000000047A8: D3AC6000 1803339D D3AD8C20 84824160
	buffer_load_dwordx4 v[148:151], v174, s[16:19], 0 offen offset:1024// 0000000047B8: E05C1400 800494AE
	v_mfma_scale_f32_16x16x128_f8f6f4 a[36:39], v[96:99], v[36:39], a[36:39], v157, v153 op_sel_hi:[0,0,0] cbsz:4 blgp:4// 0000000047C0: D3AC7000 1803339D D3AD8C24 84924960
	ds_read_b128 v[60:63], v166 offset:13184                   // 0000000047D0: D9FE3380 3C0000A6
	v_mfma_scale_f32_16x16x128_f8f6f4 a[40:43], v[100:103], v[32:35], a[40:43], v157, v153 op_sel_hi:[0,0,0] cbsz:4 blgp:4// 0000000047D8: D3AC6800 1803339D D3AD8C28 84A24164
	v_mfma_scale_f32_16x16x128_f8f6f4 a[44:47], v[100:103], v[36:39], a[44:47], v157, v153 op_sel_hi:[0,0,0] cbsz:4 blgp:4// 0000000047E8: D3AC7800 1803339D D3AD8C2C 84B24964
	ds_read_b128 v[68:71], v166 offset:13248                   // 0000000047F8: D9FE33C0 440000A6
	ds_read_b32 v155, v170 offset:768                          // 000000004800: D86C0300 9B0000AA
	s_waitcnt lgkmcnt(5)                                       // 000000004808: BF8CC57F
	v_mfma_scale_f32_16x16x128_f8f6f4 a[64:67], v[88:91], v[40:43], a[64:67], v157, v154 op_sel_hi:[0,0,0] cbsz:4 blgp:4// 00000000480C: D3AC6000 0003359D D3AD8C40 85025158
	buffer_load_dword v160, v176, s[24:27], 0 offen            // 00000000481C: E0501000 8006A0B0
	v_mfma_scale_f32_16x16x128_f8f6f4 a[68:71], v[88:91], v[44:47], a[68:71], v157, v154 op_sel_hi:[0,0,0] cbsz:4 blgp:4// 000000004824: D3AC7000 0003359D D3AD8C44 85125958
	s_add_u32 s16, s16, s67                                    // 000000004834: 80104310
	ds_read_b128 v[72:75], v166 offset:16896                   // 000000004838: D9FE4200 480000A6
	v_mfma_scale_f32_16x16x128_f8f6f4 a[72:75], v[92:95], v[40:43], a[72:75], v157, v154 op_sel_hi:[0,0,0] cbsz:4 blgp:4// 000000004840: D3AC6800 0003359D D3AD8C48 8522515C
	s_addc_u32 s17, 0, s17                                     // 000000004850: 82111180
	s_sub_u32 s18, s18, s67                                    // 000000004854: 80924312
	v_mfma_scale_f32_16x16x128_f8f6f4 a[76:79], v[92:95], v[44:47], a[76:79], v157, v154 op_sel_hi:[0,0,0] cbsz:4 blgp:4// 000000004858: D3AC7800 0003359D D3AD8C4C 8532595C
	s_add_u32 s24, s24, s69                                    // 000000004868: 80184518
	ds_read_b128 v[80:83], v166 offset:16960                   // 00000000486C: D9FE4240 500000A6
	v_mfma_scale_f32_16x16x128_f8f6f4 a[64:67], v[96:99], v[48:51], a[64:67], v157, v154 op_sel_hi:[0,0,0] cbsz:4 blgp:4// 000000004874: D3AC6000 1803359D D3AD8C40 85026160
	s_addc_u32 s25, 0, s25                                     // 000000004884: 82191980
	s_sub_u32 s26, s26, s69                                    // 000000004888: 809A451A
	v_mfma_scale_f32_16x16x128_f8f6f4 a[68:71], v[96:99], v[52:55], a[68:71], v157, v154 op_sel_hi:[0,0,0] cbsz:4 blgp:4// 00000000488C: D3AC7000 1803359D D3AD8C44 85126960
	ds_read_b128 v[76:79], v166 offset:17408                   // 00000000489C: D9FE4400 4C0000A6
	v_mfma_scale_f32_16x16x128_f8f6f4 a[72:75], v[100:103], v[48:51], a[72:75], v157, v154 op_sel_hi:[0,0,0] cbsz:4 blgp:4// 0000000048A4: D3AC6800 1803359D D3AD8C48 85226164
	v_mfma_scale_f32_16x16x128_f8f6f4 a[76:79], v[100:103], v[52:55], a[76:79], v157, v154 op_sel_hi:[0,0,0] cbsz:4 blgp:4// 0000000048B4: D3AC7800 1803359D D3AD8C4C 85326964
	ds_read_b128 v[84:87], v166 offset:17472                   // 0000000048C4: D9FE4440 540000A6
	ds_read_b32 v156, v170 offset:1024                         // 0000000048CC: D86C0400 9C0000AA
	s_waitcnt lgkmcnt(5)                                       // 0000000048D4: BF8CC57F
	s_barrier                                                  // 0000000048D8: BF8A0000
	v_mfma_scale_f32_16x16x128_f8f6f4 a[96:99], v[88:91], v[56:59], a[96:99], v157, v155 op_sel_hi:[0,0,0] cbsz:4 blgp:4// 0000000048DC: D3AC6000 0003379D D3AD8C60 85827158
	s_add_u32 m0, 0, s65                                       // 0000000048EC: 807C4180
	buffer_load_dword v168, s[20:23], 0 offen lds              // 0000000048F0: E0511000 800500A8
	v_mfma_scale_f32_16x16x128_f8f6f4 a[100:103], v[88:91], v[60:63], a[100:103], v157, v155 op_sel_hi:[0,0,0] cbsz:4 blgp:4// 0000000048F8: D3AC7000 0003379D D3AD8C64 85927958
	v_mfma_scale_f32_16x16x128_f8f6f4 a[104:107], v[92:95], v[56:59], a[104:107], v157, v155 op_sel_hi:[0,0,0] cbsz:4 blgp:4// 000000004908: D3AC6800 0003379D D3AD8C68 85A2715C
	v_mfma_scale_f32_16x16x128_f8f6f4 a[108:111], v[92:95], v[60:63], a[108:111], v157, v155 op_sel_hi:[0,0,0] cbsz:4 blgp:4// 000000004918: D3AC7800 0003379D D3AD8C6C 85B2795C
	v_mfma_scale_f32_16x16x128_f8f6f4 a[96:99], v[96:99], v[64:67], a[96:99], v157, v155 op_sel_hi:[0,0,0] cbsz:4 blgp:4// 000000004928: D3AC6000 1803379D D3AD8C60 85828160
	s_add_u32 m0, 0x400, s65                                   // 000000004938: 807C41FF 00000400
	buffer_load_dword v169, s[20:23], 0 offen lds              // 000000004940: E0511000 800500A9
	v_mfma_scale_f32_16x16x128_f8f6f4 a[100:103], v[96:99], v[68:71], a[100:103], v157, v155 op_sel_hi:[0,0,0] cbsz:4 blgp:4// 000000004948: D3AC7000 1803379D D3AD8C64 85928960
	v_mfma_scale_f32_16x16x128_f8f6f4 a[104:107], v[100:103], v[64:67], a[104:107], v157, v155 op_sel_hi:[0,0,0] cbsz:4 blgp:4// 000000004958: D3AC6800 1803379D D3AD8C68 85A28164
	v_mfma_scale_f32_16x16x128_f8f6f4 a[108:111], v[100:103], v[68:71], a[108:111], v157, v155 op_sel_hi:[0,0,0] cbsz:4 blgp:4// 000000004968: D3AC7800 1803379D D3AD8C6C 85B28964
	s_waitcnt lgkmcnt(0)                                       // 000000004978: BF8CC07F
	v_mfma_scale_f32_16x16x128_f8f6f4 a[128:131], v[88:91], v[72:75], a[128:131], v157, v156 op_sel_hi:[0,0,0] cbsz:4 blgp:4// 00000000497C: D3AC6000 0003399D D3AD8C80 86029158
	s_add_u32 m0, 0, s64                                       // 00000000498C: 807C4080
	buffer_load_dwordx4 v161, s[12:15], 0 offen lds            // 000000004990: E05D1000 800300A1
	v_mfma_scale_f32_16x16x128_f8f6f4 a[132:135], v[88:91], v[76:79], a[132:135], v157, v156 op_sel_hi:[0,0,0] cbsz:4 blgp:4// 000000004998: D3AC7000 0003399D D3AD8C84 86129958
	v_mfma_scale_f32_16x16x128_f8f6f4 a[136:139], v[92:95], v[72:75], a[136:139], v157, v156 op_sel_hi:[0,0,0] cbsz:4 blgp:4// 0000000049A8: D3AC6800 0003399D D3AD8C88 8622915C
	v_mfma_scale_f32_16x16x128_f8f6f4 a[140:143], v[92:95], v[76:79], a[140:143], v157, v156 op_sel_hi:[0,0,0] cbsz:4 blgp:4// 0000000049B8: D3AC7800 0003399D D3AD8C8C 8632995C
	v_mfma_scale_f32_16x16x128_f8f6f4 a[128:131], v[96:99], v[80:83], a[128:131], v157, v156 op_sel_hi:[0,0,0] cbsz:4 blgp:4// 0000000049C8: D3AC6000 1803399D D3AD8C80 8602A160
	v_mfma_scale_f32_16x16x128_f8f6f4 a[132:135], v[96:99], v[84:87], a[132:135], v157, v156 op_sel_hi:[0,0,0] cbsz:4 blgp:4// 0000000049D8: D3AC7000 1803399D D3AD8C84 8612A960
	v_mfma_scale_f32_16x16x128_f8f6f4 a[136:139], v[100:103], v[80:83], a[136:139], v157, v156 op_sel_hi:[0,0,0] cbsz:4 blgp:4// 0000000049E8: D3AC6800 1803399D D3AD8C88 8622A164
	v_mfma_scale_f32_16x16x128_f8f6f4 a[140:143], v[100:103], v[84:87], a[140:143], v157, v156 op_sel_hi:[0,0,0] cbsz:4 blgp:4// 0000000049F8: D3AC7800 1803399D D3AD8C8C 8632A964
	s_waitcnt vmcnt(20)                                        // 000000004A08: BF8C4F74
	v_mfma_scale_f32_16x16x128_f8f6f4 a[16:19], v[104:107], v[8:11], a[16:19], v158, v152 op_sel_hi:[0,0,0] cbsz:4 blgp:4// 000000004A0C: D3AC6000 0003319E D3AD8C10 84421168
	s_add_u32 m0, 0x1080, s64                                  // 000000004A1C: 807C40FF 00001080
	buffer_load_dwordx4 v162, s[12:15], 0 offen lds            // 000000004A24: E05D1000 800300A2
	v_mfma_scale_f32_16x16x128_f8f6f4 a[20:23], v[104:107], v[12:15], a[20:23], v158, v152 op_sel_hi:[0,0,0] cbsz:4 blgp:4// 000000004A2C: D3AC7000 0003319E D3AD8C14 84521968
	v_mfma_scale_f32_16x16x128_f8f6f4 a[24:27], v[108:111], v[8:11], a[24:27], v158, v152 op_sel_hi:[0,0,0] cbsz:4 blgp:4// 000000004A3C: D3AC6800 0003319E D3AD8C18 8462116C
	v_mfma_scale_f32_16x16x128_f8f6f4 a[28:31], v[108:111], v[12:15], a[28:31], v158, v152 op_sel_hi:[0,0,0] cbsz:4 blgp:4// 000000004A4C: D3AC7800 0003319E D3AD8C1C 8472196C
	v_mfma_scale_f32_16x16x128_f8f6f4 a[16:19], v[112:115], v[16:19], a[16:19], v158, v152 op_sel_hi:[0,0,0] cbsz:4 blgp:4// 000000004A5C: D3AC6000 1803319E D3AD8C10 84422170
	s_add_u32 m0, 0x2100, s64                                  // 000000004A6C: 807C40FF 00002100
	buffer_load_dwordx4 v163, s[12:15], 0 offen lds            // 000000004A74: E05D1000 800300A3
	v_mfma_scale_f32_16x16x128_f8f6f4 a[20:23], v[112:115], v[20:23], a[20:23], v158, v152 op_sel_hi:[0,0,0] cbsz:4 blgp:4// 000000004A7C: D3AC7000 1803319E D3AD8C14 84522970
	v_mfma_scale_f32_16x16x128_f8f6f4 a[24:27], v[116:119], v[16:19], a[24:27], v158, v152 op_sel_hi:[0,0,0] cbsz:4 blgp:4// 000000004A8C: D3AC6800 1803319E D3AD8C18 84622174
	v_mfma_scale_f32_16x16x128_f8f6f4 a[28:31], v[116:119], v[20:23], a[28:31], v158, v152 op_sel_hi:[0,0,0] cbsz:4 blgp:4// 000000004A9C: D3AC7800 1803319E D3AD8C1C 84722974
	v_mfma_scale_f32_16x16x128_f8f6f4 a[48:51], v[104:107], v[24:27], a[48:51], v158, v153 op_sel_hi:[0,0,0] cbsz:4 blgp:4// 000000004AAC: D3AC6000 0003339E D3AD8C30 84C23168
	s_add_u32 m0, 0x3180, s64                                  // 000000004ABC: 807C40FF 00003180
	buffer_load_dwordx4 v164, s[12:15], 0 offen lds            // 000000004AC4: E05D1000 800300A4
	v_mfma_scale_f32_16x16x128_f8f6f4 a[52:55], v[104:107], v[28:31], a[52:55], v158, v153 op_sel_hi:[0,0,0] cbsz:4 blgp:4// 000000004ACC: D3AC7000 0003339E D3AD8C34 84D23968
	v_mfma_scale_f32_16x16x128_f8f6f4 a[56:59], v[108:111], v[24:27], a[56:59], v158, v153 op_sel_hi:[0,0,0] cbsz:4 blgp:4// 000000004ADC: D3AC6800 0003339E D3AD8C38 84E2316C
	v_mfma_scale_f32_16x16x128_f8f6f4 a[60:63], v[108:111], v[28:31], a[60:63], v158, v153 op_sel_hi:[0,0,0] cbsz:4 blgp:4// 000000004AEC: D3AC7800 0003339E D3AD8C3C 84F2396C
	v_mfma_scale_f32_16x16x128_f8f6f4 a[48:51], v[112:115], v[32:35], a[48:51], v158, v153 op_sel_hi:[0,0,0] cbsz:4 blgp:4// 000000004AFC: D3AC6000 1803339E D3AD8C30 84C24170
	s_add_u32 m0, 0x4200, s64                                  // 000000004B0C: 807C40FF 00004200
	buffer_load_dwordx4 v165, s[12:15], 0 offen lds            // 000000004B14: E05D1000 800300A5
	v_mfma_scale_f32_16x16x128_f8f6f4 a[52:55], v[112:115], v[36:39], a[52:55], v158, v153 op_sel_hi:[0,0,0] cbsz:4 blgp:4// 000000004B1C: D3AC7000 1803339E D3AD8C34 84D24970
	s_add_u32 s62, 0x300, s60                                  // 000000004B2C: 803E3CFF 00000300
	s_cmp_lt_u32 s62, s61                                      // 000000004B34: BF0A3D3E
	v_mfma_scale_f32_16x16x128_f8f6f4 a[56:59], v[116:119], v[32:35], a[56:59], v158, v153 op_sel_hi:[0,0,0] cbsz:4 blgp:4// 000000004B38: D3AC6800 1803339E D3AD8C38 84E24174
	s_cselect_b32 s66, s66, 0                                  // 000000004B48: 85428042
	s_cselect_b32 s68, s68, 0                                  // 000000004B4C: 85448044
	v_mfma_scale_f32_16x16x128_f8f6f4 a[60:63], v[116:119], v[36:39], a[60:63], v158, v153 op_sel_hi:[0,0,0] cbsz:4 blgp:4// 000000004B50: D3AC7800 1803339E D3AD8C3C 84F24974
	s_add_u32 s12, s12, s66                                    // 000000004B60: 800C420C
	s_addc_u32 s13, 0, s13                                     // 000000004B64: 820D0D80
	v_mfma_scale_f32_16x16x128_f8f6f4 a[80:83], v[104:107], v[40:43], a[80:83], v158, v154 op_sel_hi:[0,0,0] cbsz:4 blgp:4// 000000004B68: D3AC6000 0003359E D3AD8C50 85425168
	s_sub_u32 s14, s14, s66                                    // 000000004B78: 808E420E
	buffer_load_dwordx4 v[88:91], v171, s[16:19], 0 offen      // 000000004B7C: E05C1000 800458AB
	v_mfma_scale_f32_16x16x128_f8f6f4 a[84:87], v[104:107], v[44:47], a[84:87], v158, v154 op_sel_hi:[0,0,0] cbsz:4 blgp:4// 000000004B84: D3AC7000 0003359E D3AD8C54 85525968
	s_add_u32 s20, s20, s68                                    // 000000004B94: 80144414
	s_addc_u32 s21, 0, s21                                     // 000000004B98: 82151580
	v_mfma_scale_f32_16x16x128_f8f6f4 a[88:91], v[108:111], v[40:43], a[88:91], v158, v154 op_sel_hi:[0,0,0] cbsz:4 blgp:4// 000000004B9C: D3AC6800 0003359E D3AD8C58 8562516C
	s_sub_u32 s22, s22, s68                                    // 000000004BAC: 80964416
	s_addk_i32 s60, 0x100                                      // 000000004BB0: B73C0100
	v_mfma_scale_f32_16x16x128_f8f6f4 a[92:95], v[108:111], v[44:47], a[92:95], v158, v154 op_sel_hi:[0,0,0] cbsz:4 blgp:4// 000000004BB4: D3AC7800 0003359E D3AD8C5C 8572596C
	s_cmp_lt_i32 s60, s61                                      // 000000004BC4: BF043D3C
	v_mfma_scale_f32_16x16x128_f8f6f4 a[80:83], v[112:115], v[48:51], a[80:83], v158, v154 op_sel_hi:[0,0,0] cbsz:4 blgp:4// 000000004BC8: D3AC6000 1803359E D3AD8C50 85426170
	buffer_load_dwordx4 v[92:95], v172, s[16:19], 0 offen      // 000000004BD8: E05C1000 80045CAC
	v_mfma_scale_f32_16x16x128_f8f6f4 a[84:87], v[112:115], v[52:55], a[84:87], v158, v154 op_sel_hi:[0,0,0] cbsz:4 blgp:4// 000000004BE0: D3AC7000 1803359E D3AD8C54 85526970
	v_mfma_scale_f32_16x16x128_f8f6f4 a[88:91], v[116:119], v[48:51], a[88:91], v158, v154 op_sel_hi:[0,0,0] cbsz:4 blgp:4// 000000004BF0: D3AC6800 1803359E D3AD8C58 85626174
	v_mfma_scale_f32_16x16x128_f8f6f4 a[92:95], v[116:119], v[52:55], a[92:95], v158, v154 op_sel_hi:[0,0,0] cbsz:4 blgp:4// 000000004C00: D3AC7800 1803359E D3AD8C5C 85726974
	s_waitcnt vmcnt(22)                                        // 000000004C10: BF8C4F76
	s_barrier                                                  // 000000004C14: BF8A0000
	v_mfma_scale_f32_16x16x128_f8f6f4 a[112:115], v[104:107], v[56:59], a[112:115], v158, v155 op_sel_hi:[0,0,0] cbsz:4 blgp:4// 000000004C18: D3AC0000 0003379E D3AD8C70 85C27168
	buffer_load_dwordx4 v[96:99], v171, s[16:19], 0 offen offset:1024// 000000004C28: E05C1400 800460AB
	v_mfma_scale_f32_16x16x128_f8f6f4 a[116:119], v[104:107], v[60:63], a[116:119], v158, v155 op_sel_hi:[0,0,0] cbsz:4 blgp:4// 000000004C30: D3AC7000 0003379E D3AD8C74 85D27968
	ds_read_b128 v[8:11], v167                                 // 000000004C40: D9FE0000 080000A7
	v_mfma_scale_f32_16x16x128_f8f6f4 a[120:123], v[108:111], v[56:59], a[120:123], v158, v155 op_sel_hi:[0,0,0] cbsz:4 blgp:4// 000000004C48: D3AC6800 0003379E D3AD8C78 85E2716C
	v_mfma_scale_f32_16x16x128_f8f6f4 a[124:127], v[108:111], v[60:63], a[124:127], v158, v155 op_sel_hi:[0,0,0] cbsz:4 blgp:4// 000000004C58: D3AC7800 0003379E D3AD8C7C 85F2796C
	ds_read_b128 v[16:19], v167 offset:64                      // 000000004C68: D9FE0040 100000A7
	v_mfma_scale_f32_16x16x128_f8f6f4 a[112:115], v[112:115], v[64:67], a[112:115], v158, v155 op_sel_hi:[0,0,0] cbsz:4 blgp:4// 000000004C70: D3AC6000 1803379E D3AD8C70 85C28170
	buffer_load_dwordx4 v[100:103], v172, s[16:19], 0 offen offset:1024// 000000004C80: E05C1400 800464AC
	v_mfma_scale_f32_16x16x128_f8f6f4 a[116:119], v[112:115], v[68:71], a[116:119], v158, v155 op_sel_hi:[0,0,0] cbsz:4 blgp:4// 000000004C88: D3AC7000 1803379E D3AD8C74 85D28970
	ds_read_b128 v[12:15], v167 offset:512                     // 000000004C98: D9FE0200 0C0000A7
	v_mfma_scale_f32_16x16x128_f8f6f4 a[120:123], v[116:119], v[64:67], a[120:123], v158, v155 op_sel_hi:[0,0,0] cbsz:4 blgp:4// 000000004CA0: D3AC6800 1803379E D3AD8C78 85E28174
	v_mfma_scale_f32_16x16x128_f8f6f4 a[124:127], v[116:119], v[68:71], a[124:127], v158, v155 op_sel_hi:[0,0,0] cbsz:4 blgp:4// 000000004CB0: D3AC7800 1803379E D3AD8C7C 85F28974
	ds_read_b128 v[20:23], v167 offset:576                     // 000000004CC0: D9FE0240 140000A7
	ds_read_b32 v152, v170 offset:2048                         // 000000004CC8: D86C0800 980000AA
	v_mfma_scale_f32_16x16x128_f8f6f4 a[144:147], v[104:107], v[72:75], a[144:147], v158, v156 op_sel_hi:[0,0,0] cbsz:4 blgp:4// 000000004CD0: D3AC6000 0003399E D3AD8C90 86429168
	buffer_load_dword v157, v175, s[24:27], 0 offen            // 000000004CE0: E0501000 80069DAF
	v_mfma_scale_f32_16x16x128_f8f6f4 a[148:151], v[104:107], v[76:79], a[148:151], v158, v156 op_sel_hi:[0,0,0] cbsz:4 blgp:4// 000000004CE8: D3AC7000 0003399E D3AD8C94 86529968
	ds_read_b128 v[24:27], v167 offset:4224                    // 000000004CF8: D9FE1080 180000A7
	v_mfma_scale_f32_16x16x128_f8f6f4 a[152:155], v[108:111], v[72:75], a[152:155], v158, v156 op_sel_hi:[0,0,0] cbsz:4 blgp:4// 000000004D00: D3AC6800 0003399E D3AD8C98 8662916C
	v_mfma_scale_f32_16x16x128_f8f6f4 a[156:159], v[108:111], v[76:79], a[156:159], v158, v156 op_sel_hi:[0,0,0] cbsz:4 blgp:4// 000000004D10: D3AC7800 0003399E D3AD8C9C 8672996C
	ds_read_b128 v[32:35], v167 offset:4288                    // 000000004D20: D9FE10C0 200000A7
	v_mfma_scale_f32_16x16x128_f8f6f4 a[144:147], v[112:115], v[80:83], a[144:147], v158, v156 op_sel_hi:[0,0,0] cbsz:4 blgp:4// 000000004D28: D3AC6000 1803399E D3AD8C90 8642A170
	v_mfma_scale_f32_16x16x128_f8f6f4 a[148:151], v[112:115], v[84:87], a[148:151], v158, v156 op_sel_hi:[0,0,0] cbsz:4 blgp:4// 000000004D38: D3AC7000 1803399E D3AD8C94 8652A970
	ds_read_b128 v[28:31], v167 offset:4736                    // 000000004D48: D9FE1280 1C0000A7
	v_mfma_scale_f32_16x16x128_f8f6f4 a[152:155], v[116:119], v[80:83], a[152:155], v158, v156 op_sel_hi:[0,0,0] cbsz:4 blgp:4// 000000004D50: D3AC6800 1803399E D3AD8C98 8662A174
	v_mfma_scale_f32_16x16x128_f8f6f4 a[156:159], v[116:119], v[84:87], a[156:159], v158, v156 op_sel_hi:[0,0,0] cbsz:4 blgp:4// 000000004D60: D3AC7800 1803399E D3AD8C9C 8672A974
	ds_read_b128 v[36:39], v167 offset:4800                    // 000000004D70: D9FE12C0 240000A7
	ds_read_b32 v153, v170 offset:2304                         // 000000004D78: D86C0900 990000AA
	s_cbranch_scc0 label_0A27                                  // 000000004D80: BF8401C6
	s_waitcnt vmcnt(17) lgkmcnt(5)                             // 000000004D84: BF8C4571
	s_barrier                                                  // 000000004D88: BF8A0000
	v_mfma_scale_f32_16x16x128_f8f6f4 a[0:3], v[120:123], v[8:11], a[0:3], v159, v152 op_sel_hi:[0,0,0] cbsz:4 blgp:4// 000000004D8C: D3AC6000 0003319F D3AD8C00 84021178
	s_add_u32 s63, 0x200, s60                                  // 000000004D9C: 803F3CFF 00000200
	buffer_load_dwordx4 v[104:107], v173, s[16:19], 0 offen    // 000000004DA4: E05C1000 800468AD
	v_mfma_scale_f32_16x16x128_f8f6f4 a[4:7], v[120:123], v[12:15], a[4:7], v159, v152 op_sel_hi:[0,0,0] cbsz:4 blgp:4// 000000004DAC: D3AC7000 0003319F D3AD8C04 84121978
	s_cmp_lt_u32 s63, s61                                      // 000000004DBC: BF0A3D3F
	ds_read_b128 v[40:43], v167 offset:8448                    // 000000004DC0: D9FE2100 280000A7
	v_mfma_scale_f32_16x16x128_f8f6f4 a[8:11], v[124:127], v[8:11], a[8:11], v159, v152 op_sel_hi:[0,0,0] cbsz:4 blgp:4// 000000004DC8: D3AC6800 0003319F D3AD8C08 8422117C
	s_cselect_b32 s67, s67, 0                                  // 000000004DD8: 85438043
	s_cselect_b32 s69, s69, 0                                  // 000000004DDC: 85458045
	v_mfma_scale_f32_16x16x128_f8f6f4 a[12:15], v[124:127], v[12:15], a[12:15], v159, v152 op_sel_hi:[0,0,0] cbsz:4 blgp:4// 000000004DE0: D3AC7800 0003319F D3AD8C0C 8432197C
	ds_read_b128 v[48:51], v167 offset:8512                    // 000000004DF0: D9FE2140 300000A7
	v_mfma_scale_f32_16x16x128_f8f6f4 a[0:3], v[128:131], v[16:19], a[0:3], v159, v152 op_sel_hi:[0,0,0] cbsz:4 blgp:4// 000000004DF8: D3AC6000 1803319F D3AD8C00 84022180
	buffer_load_dwordx4 v[108:111], v174, s[16:19], 0 offen    // 000000004E08: E05C1000 80046CAE
	v_mfma_scale_f32_16x16x128_f8f6f4 a[4:7], v[128:131], v[20:23], a[4:7], v159, v152 op_sel_hi:[0,0,0] cbsz:4 blgp:4// 000000004E10: D3AC7000 1803319F D3AD8C04 84122980
	ds_read_b128 v[44:47], v167 offset:8960                    // 000000004E20: D9FE2300 2C0000A7
	v_mfma_scale_f32_16x16x128_f8f6f4 a[8:11], v[132:135], v[16:19], a[8:11], v159, v152 op_sel_hi:[0,0,0] cbsz:4 blgp:4// 000000004E28: D3AC6800 1803319F D3AD8C08 84222184
	v_mfma_scale_f32_16x16x128_f8f6f4 a[12:15], v[132:135], v[20:23], a[12:15], v159, v152 op_sel_hi:[0,0,0] cbsz:4 blgp:4// 000000004E38: D3AC7800 1803319F D3AD8C0C 84322984
	ds_read_b128 v[52:55], v167 offset:9024                    // 000000004E48: D9FE2340 340000A7
	ds_read_b32 v154, v170 offset:2560                         // 000000004E50: D86C0A00 9A0000AA
	s_waitcnt lgkmcnt(5)                                       // 000000004E58: BF8CC57F
	v_mfma_scale_f32_16x16x128_f8f6f4 a[32:35], v[120:123], v[24:27], a[32:35], v159, v153 op_sel_hi:[0,0,0] cbsz:4 blgp:4// 000000004E5C: D3AC6000 0003339F D3AD8C20 84823178
	buffer_load_dwordx4 v[112:115], v173, s[16:19], 0 offen offset:1024// 000000004E6C: E05C1400 800470AD
	v_mfma_scale_f32_16x16x128_f8f6f4 a[36:39], v[120:123], v[28:31], a[36:39], v159, v153 op_sel_hi:[0,0,0] cbsz:4 blgp:4// 000000004E74: D3AC7000 0003339F D3AD8C24 84923978
	ds_read_b128 v[56:59], v167 offset:12672                   // 000000004E84: D9FE3180 380000A7
	v_mfma_scale_f32_16x16x128_f8f6f4 a[40:43], v[124:127], v[24:27], a[40:43], v159, v153 op_sel_hi:[0,0,0] cbsz:4 blgp:4// 000000004E8C: D3AC6800 0003339F D3AD8C28 84A2317C
	v_mfma_scale_f32_16x16x128_f8f6f4 a[44:47], v[124:127], v[28:31], a[44:47], v159, v153 op_sel_hi:[0,0,0] cbsz:4 blgp:4// 000000004E9C: D3AC7800 0003339F D3AD8C2C 84B2397C
	ds_read_b128 v[64:67], v167 offset:12736                   // 000000004EAC: D9FE31C0 400000A7
	v_mfma_scale_f32_16x16x128_f8f6f4 a[32:35], v[128:131], v[32:35], a[32:35], v159, v153 op_sel_hi:[0,0,0] cbsz:4 blgp:4// 000000004EB4: D3AC6000 1803339F D3AD8C20 84824180
	buffer_load_dwordx4 v[116:119], v174, s[16:19], 0 offen offset:1024// 000000004EC4: E05C1400 800474AE
	v_mfma_scale_f32_16x16x128_f8f6f4 a[36:39], v[128:131], v[36:39], a[36:39], v159, v153 op_sel_hi:[0,0,0] cbsz:4 blgp:4// 000000004ECC: D3AC7000 1803339F D3AD8C24 84924980
	ds_read_b128 v[60:63], v167 offset:13184                   // 000000004EDC: D9FE3380 3C0000A7
	v_mfma_scale_f32_16x16x128_f8f6f4 a[40:43], v[132:135], v[32:35], a[40:43], v159, v153 op_sel_hi:[0,0,0] cbsz:4 blgp:4// 000000004EE4: D3AC6800 1803339F D3AD8C28 84A24184
	v_mfma_scale_f32_16x16x128_f8f6f4 a[44:47], v[132:135], v[36:39], a[44:47], v159, v153 op_sel_hi:[0,0,0] cbsz:4 blgp:4// 000000004EF4: D3AC7800 1803339F D3AD8C2C 84B24984
	ds_read_b128 v[68:71], v167 offset:13248                   // 000000004F04: D9FE33C0 440000A7
	ds_read_b32 v155, v170 offset:2816                         // 000000004F0C: D86C0B00 9B0000AA
	s_waitcnt lgkmcnt(5)                                       // 000000004F14: BF8CC57F
	v_mfma_scale_f32_16x16x128_f8f6f4 a[64:67], v[120:123], v[40:43], a[64:67], v159, v154 op_sel_hi:[0,0,0] cbsz:4 blgp:4// 000000004F18: D3AC6000 0003359F D3AD8C40 85025178
	buffer_load_dword v158, v176, s[24:27], 0 offen            // 000000004F28: E0501000 80069EB0
	v_mfma_scale_f32_16x16x128_f8f6f4 a[68:71], v[120:123], v[44:47], a[68:71], v159, v154 op_sel_hi:[0,0,0] cbsz:4 blgp:4// 000000004F30: D3AC7000 0003359F D3AD8C44 85125978
	s_add_u32 s16, s16, s67                                    // 000000004F40: 80104310
	ds_read_b128 v[72:75], v167 offset:16896                   // 000000004F44: D9FE4200 480000A7
	v_mfma_scale_f32_16x16x128_f8f6f4 a[72:75], v[124:127], v[40:43], a[72:75], v159, v154 op_sel_hi:[0,0,0] cbsz:4 blgp:4// 000000004F4C: D3AC6800 0003359F D3AD8C48 8522517C
	s_addc_u32 s17, 0, s17                                     // 000000004F5C: 82111180
	s_sub_u32 s18, s18, s67                                    // 000000004F60: 80924312
	v_mfma_scale_f32_16x16x128_f8f6f4 a[76:79], v[124:127], v[44:47], a[76:79], v159, v154 op_sel_hi:[0,0,0] cbsz:4 blgp:4// 000000004F64: D3AC7800 0003359F D3AD8C4C 8532597C
	s_add_u32 s24, s24, s69                                    // 000000004F74: 80184518
	ds_read_b128 v[80:83], v167 offset:16960                   // 000000004F78: D9FE4240 500000A7
	v_mfma_scale_f32_16x16x128_f8f6f4 a[64:67], v[128:131], v[48:51], a[64:67], v159, v154 op_sel_hi:[0,0,0] cbsz:4 blgp:4// 000000004F80: D3AC6000 1803359F D3AD8C40 85026180
	s_addc_u32 s25, 0, s25                                     // 000000004F90: 82191980
	s_sub_u32 s26, s26, s69                                    // 000000004F94: 809A451A
	v_mfma_scale_f32_16x16x128_f8f6f4 a[68:71], v[128:131], v[52:55], a[68:71], v159, v154 op_sel_hi:[0,0,0] cbsz:4 blgp:4// 000000004F98: D3AC7000 1803359F D3AD8C44 85126980
	ds_read_b128 v[76:79], v167 offset:17408                   // 000000004FA8: D9FE4400 4C0000A7
	v_mfma_scale_f32_16x16x128_f8f6f4 a[72:75], v[132:135], v[48:51], a[72:75], v159, v154 op_sel_hi:[0,0,0] cbsz:4 blgp:4// 000000004FB0: D3AC6800 1803359F D3AD8C48 85226184
	v_mfma_scale_f32_16x16x128_f8f6f4 a[76:79], v[132:135], v[52:55], a[76:79], v159, v154 op_sel_hi:[0,0,0] cbsz:4 blgp:4// 000000004FC0: D3AC7800 1803359F D3AD8C4C 85326984
	ds_read_b128 v[84:87], v167 offset:17472                   // 000000004FD0: D9FE4440 540000A7
	ds_read_b32 v156, v170 offset:3072                         // 000000004FD8: D86C0C00 9C0000AA
	s_waitcnt lgkmcnt(5)                                       // 000000004FE0: BF8CC57F
	s_barrier                                                  // 000000004FE4: BF8A0000
	v_mfma_scale_f32_16x16x128_f8f6f4 a[96:99], v[120:123], v[56:59], a[96:99], v159, v155 op_sel_hi:[0,0,0] cbsz:4 blgp:4// 000000004FE8: D3AC6000 0003379F D3AD8C60 85827178
	s_add_u32 m0, 0x800, s65                                   // 000000004FF8: 807C41FF 00000800
	buffer_load_dword v168, s[20:23], 0 offen lds              // 000000005000: E0511000 800500A8
	v_mfma_scale_f32_16x16x128_f8f6f4 a[100:103], v[120:123], v[60:63], a[100:103], v159, v155 op_sel_hi:[0,0,0] cbsz:4 blgp:4// 000000005008: D3AC7000 0003379F D3AD8C64 85927978
	v_mfma_scale_f32_16x16x128_f8f6f4 a[104:107], v[124:127], v[56:59], a[104:107], v159, v155 op_sel_hi:[0,0,0] cbsz:4 blgp:4// 000000005018: D3AC6800 0003379F D3AD8C68 85A2717C
	v_mfma_scale_f32_16x16x128_f8f6f4 a[108:111], v[124:127], v[60:63], a[108:111], v159, v155 op_sel_hi:[0,0,0] cbsz:4 blgp:4// 000000005028: D3AC7800 0003379F D3AD8C6C 85B2797C
	v_mfma_scale_f32_16x16x128_f8f6f4 a[96:99], v[128:131], v[64:67], a[96:99], v159, v155 op_sel_hi:[0,0,0] cbsz:4 blgp:4// 000000005038: D3AC6000 1803379F D3AD8C60 85828180
	s_add_u32 m0, 0xc00, s65                                   // 000000005048: 807C41FF 00000C00
	buffer_load_dword v169, s[20:23], 0 offen lds              // 000000005050: E0511000 800500A9
	v_mfma_scale_f32_16x16x128_f8f6f4 a[100:103], v[128:131], v[68:71], a[100:103], v159, v155 op_sel_hi:[0,0,0] cbsz:4 blgp:4// 000000005058: D3AC7000 1803379F D3AD8C64 85928980
	v_mfma_scale_f32_16x16x128_f8f6f4 a[104:107], v[132:135], v[64:67], a[104:107], v159, v155 op_sel_hi:[0,0,0] cbsz:4 blgp:4// 000000005068: D3AC6800 1803379F D3AD8C68 85A28184
	v_mfma_scale_f32_16x16x128_f8f6f4 a[108:111], v[132:135], v[68:71], a[108:111], v159, v155 op_sel_hi:[0,0,0] cbsz:4 blgp:4// 000000005078: D3AC7800 1803379F D3AD8C6C 85B28984
	s_waitcnt lgkmcnt(0)                                       // 000000005088: BF8CC07F
	v_mfma_scale_f32_16x16x128_f8f6f4 a[128:131], v[120:123], v[72:75], a[128:131], v159, v156 op_sel_hi:[0,0,0] cbsz:4 blgp:4// 00000000508C: D3AC6000 0003399F D3AD8C80 86029178
	s_add_u32 m0, 0x5280, s64                                  // 00000000509C: 807C40FF 00005280
	buffer_load_dwordx4 v161, s[12:15], 0 offen lds            // 0000000050A4: E05D1000 800300A1
	v_mfma_scale_f32_16x16x128_f8f6f4 a[132:135], v[120:123], v[76:79], a[132:135], v159, v156 op_sel_hi:[0,0,0] cbsz:4 blgp:4// 0000000050AC: D3AC7000 0003399F D3AD8C84 86129978
	v_mfma_scale_f32_16x16x128_f8f6f4 a[136:139], v[124:127], v[72:75], a[136:139], v159, v156 op_sel_hi:[0,0,0] cbsz:4 blgp:4// 0000000050BC: D3AC6800 0003399F D3AD8C88 8622917C
	v_mfma_scale_f32_16x16x128_f8f6f4 a[140:143], v[124:127], v[76:79], a[140:143], v159, v156 op_sel_hi:[0,0,0] cbsz:4 blgp:4// 0000000050CC: D3AC7800 0003399F D3AD8C8C 8632997C
	v_mfma_scale_f32_16x16x128_f8f6f4 a[128:131], v[128:131], v[80:83], a[128:131], v159, v156 op_sel_hi:[0,0,0] cbsz:4 blgp:4// 0000000050DC: D3AC6000 1803399F D3AD8C80 8602A180
	v_mfma_scale_f32_16x16x128_f8f6f4 a[132:135], v[128:131], v[84:87], a[132:135], v159, v156 op_sel_hi:[0,0,0] cbsz:4 blgp:4// 0000000050EC: D3AC7000 1803399F D3AD8C84 8612A980
	v_mfma_scale_f32_16x16x128_f8f6f4 a[136:139], v[132:135], v[80:83], a[136:139], v159, v156 op_sel_hi:[0,0,0] cbsz:4 blgp:4// 0000000050FC: D3AC6800 1803399F D3AD8C88 8622A184
	v_mfma_scale_f32_16x16x128_f8f6f4 a[140:143], v[132:135], v[84:87], a[140:143], v159, v156 op_sel_hi:[0,0,0] cbsz:4 blgp:4// 00000000510C: D3AC7800 1803399F D3AD8C8C 8632A984
	s_waitcnt vmcnt(20)                                        // 00000000511C: BF8C4F74
	v_mfma_scale_f32_16x16x128_f8f6f4 a[16:19], v[136:139], v[8:11], a[16:19], v160, v152 op_sel_hi:[0,0,0] cbsz:4 blgp:4// 000000005120: D3AC6000 000331A0 D3AD8C10 84421188
	s_add_u32 m0, 0x6300, s64                                  // 000000005130: 807C40FF 00006300
	buffer_load_dwordx4 v162, s[12:15], 0 offen lds            // 000000005138: E05D1000 800300A2
	v_mfma_scale_f32_16x16x128_f8f6f4 a[20:23], v[136:139], v[12:15], a[20:23], v160, v152 op_sel_hi:[0,0,0] cbsz:4 blgp:4// 000000005140: D3AC7000 000331A0 D3AD8C14 84521988
	v_mfma_scale_f32_16x16x128_f8f6f4 a[24:27], v[140:143], v[8:11], a[24:27], v160, v152 op_sel_hi:[0,0,0] cbsz:4 blgp:4// 000000005150: D3AC6800 000331A0 D3AD8C18 8462118C
	v_mfma_scale_f32_16x16x128_f8f6f4 a[28:31], v[140:143], v[12:15], a[28:31], v160, v152 op_sel_hi:[0,0,0] cbsz:4 blgp:4// 000000005160: D3AC7800 000331A0 D3AD8C1C 8472198C
	v_mfma_scale_f32_16x16x128_f8f6f4 a[16:19], v[144:147], v[16:19], a[16:19], v160, v152 op_sel_hi:[0,0,0] cbsz:4 blgp:4// 000000005170: D3AC6000 180331A0 D3AD8C10 84422190
	s_add_u32 m0, 0x7380, s64                                  // 000000005180: 807C40FF 00007380
	buffer_load_dwordx4 v163, s[12:15], 0 offen lds            // 000000005188: E05D1000 800300A3
	v_mfma_scale_f32_16x16x128_f8f6f4 a[20:23], v[144:147], v[20:23], a[20:23], v160, v152 op_sel_hi:[0,0,0] cbsz:4 blgp:4// 000000005190: D3AC7000 180331A0 D3AD8C14 84522990
	v_mfma_scale_f32_16x16x128_f8f6f4 a[24:27], v[148:151], v[16:19], a[24:27], v160, v152 op_sel_hi:[0,0,0] cbsz:4 blgp:4// 0000000051A0: D3AC6800 180331A0 D3AD8C18 84622194
	v_mfma_scale_f32_16x16x128_f8f6f4 a[28:31], v[148:151], v[20:23], a[28:31], v160, v152 op_sel_hi:[0,0,0] cbsz:4 blgp:4// 0000000051B0: D3AC7800 180331A0 D3AD8C1C 84722994
	v_mfma_scale_f32_16x16x128_f8f6f4 a[48:51], v[136:139], v[24:27], a[48:51], v160, v153 op_sel_hi:[0,0,0] cbsz:4 blgp:4// 0000000051C0: D3AC6000 000333A0 D3AD8C30 84C23188
	s_add_u32 m0, 0x8400, s64                                  // 0000000051D0: 807C40FF 00008400
	buffer_load_dwordx4 v164, s[12:15], 0 offen lds            // 0000000051D8: E05D1000 800300A4
	v_mfma_scale_f32_16x16x128_f8f6f4 a[52:55], v[136:139], v[28:31], a[52:55], v160, v153 op_sel_hi:[0,0,0] cbsz:4 blgp:4// 0000000051E0: D3AC7000 000333A0 D3AD8C34 84D23988
	v_mfma_scale_f32_16x16x128_f8f6f4 a[56:59], v[140:143], v[24:27], a[56:59], v160, v153 op_sel_hi:[0,0,0] cbsz:4 blgp:4// 0000000051F0: D3AC6800 000333A0 D3AD8C38 84E2318C
	v_mfma_scale_f32_16x16x128_f8f6f4 a[60:63], v[140:143], v[28:31], a[60:63], v160, v153 op_sel_hi:[0,0,0] cbsz:4 blgp:4// 000000005200: D3AC7800 000333A0 D3AD8C3C 84F2398C
	v_mfma_scale_f32_16x16x128_f8f6f4 a[48:51], v[144:147], v[32:35], a[48:51], v160, v153 op_sel_hi:[0,0,0] cbsz:4 blgp:4// 000000005210: D3AC6000 180333A0 D3AD8C30 84C24190
	s_add_u32 m0, 0x9480, s64                                  // 000000005220: 807C40FF 00009480
	buffer_load_dwordx4 v165, s[12:15], 0 offen lds            // 000000005228: E05D1000 800300A5
	v_mfma_scale_f32_16x16x128_f8f6f4 a[52:55], v[144:147], v[36:39], a[52:55], v160, v153 op_sel_hi:[0,0,0] cbsz:4 blgp:4// 000000005230: D3AC7000 180333A0 D3AD8C34 84D24990
	s_add_u32 s62, 0x300, s60                                  // 000000005240: 803E3CFF 00000300
	s_cmp_lt_u32 s62, s61                                      // 000000005248: BF0A3D3E
	v_mfma_scale_f32_16x16x128_f8f6f4 a[56:59], v[148:151], v[32:35], a[56:59], v160, v153 op_sel_hi:[0,0,0] cbsz:4 blgp:4// 00000000524C: D3AC6800 180333A0 D3AD8C38 84E24194
	s_cselect_b32 s66, s66, 0                                  // 00000000525C: 85428042
	s_cselect_b32 s68, s68, 0                                  // 000000005260: 85448044
	v_mfma_scale_f32_16x16x128_f8f6f4 a[60:63], v[148:151], v[36:39], a[60:63], v160, v153 op_sel_hi:[0,0,0] cbsz:4 blgp:4// 000000005264: D3AC7800 180333A0 D3AD8C3C 84F24994
	s_add_u32 s12, s12, s66                                    // 000000005274: 800C420C
	s_addc_u32 s13, 0, s13                                     // 000000005278: 820D0D80
	v_mfma_scale_f32_16x16x128_f8f6f4 a[80:83], v[136:139], v[40:43], a[80:83], v160, v154 op_sel_hi:[0,0,0] cbsz:4 blgp:4// 00000000527C: D3AC6000 000335A0 D3AD8C50 85425188
	s_sub_u32 s14, s14, s66                                    // 00000000528C: 808E420E
	buffer_load_dwordx4 v[120:123], v171, s[16:19], 0 offen    // 000000005290: E05C1000 800478AB
	v_mfma_scale_f32_16x16x128_f8f6f4 a[84:87], v[136:139], v[44:47], a[84:87], v160, v154 op_sel_hi:[0,0,0] cbsz:4 blgp:4// 000000005298: D3AC7000 000335A0 D3AD8C54 85525988
	s_add_u32 s20, s20, s68                                    // 0000000052A8: 80144414
	s_addc_u32 s21, 0, s21                                     // 0000000052AC: 82151580
	v_mfma_scale_f32_16x16x128_f8f6f4 a[88:91], v[140:143], v[40:43], a[88:91], v160, v154 op_sel_hi:[0,0,0] cbsz:4 blgp:4// 0000000052B0: D3AC6800 000335A0 D3AD8C58 8562518C
	s_sub_u32 s22, s22, s68                                    // 0000000052C0: 80964416
	s_addk_i32 s60, 0x100                                      // 0000000052C4: B73C0100
	v_mfma_scale_f32_16x16x128_f8f6f4 a[92:95], v[140:143], v[44:47], a[92:95], v160, v154 op_sel_hi:[0,0,0] cbsz:4 blgp:4// 0000000052C8: D3AC7800 000335A0 D3AD8C5C 8572598C
	s_cmp_lt_i32 s60, s61                                      // 0000000052D8: BF043D3C
	v_mfma_scale_f32_16x16x128_f8f6f4 a[80:83], v[144:147], v[48:51], a[80:83], v160, v154 op_sel_hi:[0,0,0] cbsz:4 blgp:4// 0000000052DC: D3AC6000 180335A0 D3AD8C50 85426190
	buffer_load_dwordx4 v[124:127], v172, s[16:19], 0 offen    // 0000000052EC: E05C1000 80047CAC
	v_mfma_scale_f32_16x16x128_f8f6f4 a[84:87], v[144:147], v[52:55], a[84:87], v160, v154 op_sel_hi:[0,0,0] cbsz:4 blgp:4// 0000000052F4: D3AC5000 180335A0 D3AD8C54 85526990
	v_mfma_scale_f32_16x16x128_f8f6f4 a[88:91], v[148:151], v[48:51], a[88:91], v160, v154 op_sel_hi:[0,0,0] cbsz:4 blgp:4// 000000005304: D3AC6800 180335A0 D3AD8C58 85626194
	v_mfma_scale_f32_16x16x128_f8f6f4 a[92:95], v[148:151], v[52:55], a[92:95], v160, v154 op_sel_hi:[0,0,0] cbsz:4 blgp:4// 000000005314: D3AC3800 180335A0 D3AD8C5C 85726994
	s_waitcnt vmcnt(22)                                        // 000000005324: BF8C4F76
	s_barrier                                                  // 000000005328: BF8A0000
	v_mfma_scale_f32_16x16x128_f8f6f4 a[112:115], v[136:139], v[56:59], a[112:115], v160, v155 op_sel_hi:[0,0,0] cbsz:4 blgp:4// 00000000532C: D3AC6000 000337A0 D3AD8C70 85C27188
	buffer_load_dwordx4 v[128:131], v171, s[16:19], 0 offen offset:1024// 00000000533C: E05C1400 800480AB
	v_mfma_scale_f32_16x16x128_f8f6f4 a[116:119], v[136:139], v[60:63], a[116:119], v160, v155 op_sel_hi:[0,0,0] cbsz:4 blgp:4// 000000005344: D3AC7000 000337A0 D3AD8C74 85D27988
	ds_read_b128 v[8:11], v166                                 // 000000005354: D9FE0000 080000A6
	v_mfma_scale_f32_16x16x128_f8f6f4 a[120:123], v[140:143], v[56:59], a[120:123], v160, v155 op_sel_hi:[0,0,0] cbsz:4 blgp:4// 00000000535C: D3AC6800 000337A0 D3AD8C78 85E2718C
	v_mfma_scale_f32_16x16x128_f8f6f4 a[124:127], v[140:143], v[60:63], a[124:127], v160, v155 op_sel_hi:[0,0,0] cbsz:4 blgp:4// 00000000536C: D3AC7800 000337A0 D3AD8C7C 85F2798C
	ds_read_b128 v[16:19], v166 offset:64                      // 00000000537C: D9FE0040 100000A6
	v_mfma_scale_f32_16x16x128_f8f6f4 a[112:115], v[144:147], v[64:67], a[112:115], v160, v155 op_sel_hi:[0,0,0] cbsz:4 blgp:4// 000000005384: D3AC6000 180337A0 D3AD8C70 85C28190
	buffer_load_dwordx4 v[132:135], v172, s[16:19], 0 offen offset:1024// 000000005394: E05C1400 800484AC
	v_mfma_scale_f32_16x16x128_f8f6f4 a[116:119], v[144:147], v[68:71], a[116:119], v160, v155 op_sel_hi:[0,0,0] cbsz:4 blgp:4// 00000000539C: D3AC7000 180337A0 D3AD8C74 85D28990
	ds_read_b128 v[12:15], v166 offset:512                     // 0000000053AC: D9FE0200 0C0000A6
	v_mfma_scale_f32_16x16x128_f8f6f4 a[120:123], v[148:151], v[64:67], a[120:123], v160, v155 op_sel_hi:[0,0,0] cbsz:4 blgp:4// 0000000053B4: D3AC6800 180337A0 D3AD8C78 85E28194
	v_mfma_scale_f32_16x16x128_f8f6f4 a[124:127], v[148:151], v[68:71], a[124:127], v160, v155 op_sel_hi:[0,0,0] cbsz:4 blgp:4// 0000000053C4: D3AC7800 180337A0 D3AD8C7C 85F28994
	ds_read_b128 v[20:23], v166 offset:576                     // 0000000053D4: D9FE0240 140000A6
	ds_read_b32 v152, v170                                     // 0000000053DC: D86C0000 980000AA
	v_mfma_scale_f32_16x16x128_f8f6f4 a[144:147], v[136:139], v[72:75], a[144:147], v160, v156 op_sel_hi:[0,0,0] cbsz:4 blgp:4// 0000000053E4: D3AC6000 000339A0 D3AD8C90 86429188
	buffer_load_dword v159, v175, s[24:27], 0 offen            // 0000000053F4: E0501000 80069FAF
	v_mfma_scale_f32_16x16x128_f8f6f4 a[148:151], v[136:139], v[76:79], a[148:151], v160, v156 op_sel_hi:[0,0,0] cbsz:4 blgp:4// 0000000053FC: D3AC7000 000339A0 D3AD8C94 86529988
	ds_read_b128 v[24:27], v166 offset:4224                    // 00000000540C: D9FE1080 180000A6
	v_mfma_scale_f32_16x16x128_f8f6f4 a[152:155], v[140:143], v[72:75], a[152:155], v160, v156 op_sel_hi:[0,0,0] cbsz:4 blgp:4// 000000005414: D3AC6800 000339A0 D3AD8C98 8662918C
	v_mfma_scale_f32_16x16x128_f8f6f4 a[156:159], v[140:143], v[76:79], a[156:159], v160, v156 op_sel_hi:[0,0,0] cbsz:4 blgp:4// 000000005424: D3AC7800 000339A0 D3AD8C9C 8672998C
	ds_read_b128 v[32:35], v166 offset:4288                    // 000000005434: D9FE10C0 200000A6
	v_mfma_scale_f32_16x16x128_f8f6f4 a[144:147], v[144:147], v[80:83], a[144:147], v160, v156 op_sel_hi:[0,0,0] cbsz:4 blgp:4// 00000000543C: D3AC6000 180339A0 D3AD8C90 8642A190
	v_mfma_scale_f32_16x16x128_f8f6f4 a[148:151], v[144:147], v[84:87], a[148:151], v160, v156 op_sel_hi:[0,0,0] cbsz:4 blgp:4// 00000000544C: D3AC7000 180339A0 D3AD8C94 8652A990
	ds_read_b128 v[28:31], v166 offset:4736                    // 00000000545C: D9FE1280 1C0000A6
	v_mfma_scale_f32_16x16x128_f8f6f4 a[152:155], v[148:151], v[80:83], a[152:155], v160, v156 op_sel_hi:[0,0,0] cbsz:4 blgp:4// 000000005464: D3AC6800 180339A0 D3AD8C98 8662A194
	v_mfma_scale_f32_16x16x128_f8f6f4 a[156:159], v[148:151], v[84:87], a[156:159], v160, v156 op_sel_hi:[0,0,0] cbsz:4 blgp:4// 000000005474: D3AC7800 180339A0 D3AD8C9C 8672A994
	ds_read_b128 v[36:39], v166 offset:4800                    // 000000005484: D9FE12C0 240000A6
	ds_read_b32 v153, v170 offset:256                          // 00000000548C: D86C0100 990000AA
	s_cbranch_scc0 label_0A27                                  // 000000005494: BF840001
	s_branch label_069E                                        // 000000005498: BF82FC77

000000000000549c <label_0A27>:
	s_waitcnt lgkmcnt(0)                                       // 00000000549C: BF8CC07F
	s_mul_i32 s62, s47, 0x100                                  // 0000000054A0: 923EFF2F 00000100
	s_mul_i32 s63, s46, 64                                     // 0000000054A8: 923FC02E
	s_add_u32 s60, s62, s63                                    // 0000000054AC: 803C3F3E
	s_add_u32 s62, s60, 64                                     // 0000000054B0: 803EC03C
	s_cmp_lt_i32 s44, s62                                      // 0000000054B4: BF043E2C
	s_cbranch_scc1 label_0CB3                                  // 0000000054B8: BF850284
	s_mul_i32 s62, s36, 16                                     // 0000000054BC: 923E9024
	v_add_u32_e32 v181, 0, v177                                // 0000000054C0: 696B6280
	v_accvgpr_read_b32 v8, a0                                  // 0000000054C4: D3D84008 18000100
	v_accvgpr_read_b32 v9, a1                                  // 0000000054CC: D3D84009 18000101
	v_accvgpr_read_b32 v10, a2                                 // 0000000054D4: D3D8400A 18000102
	v_accvgpr_read_b32 v11, a3                                 // 0000000054DC: D3D8400B 18000103
	v_accvgpr_read_b32 v12, a8                                 // 0000000054E4: D3D8400C 18000108
	v_accvgpr_read_b32 v13, a9                                 // 0000000054EC: D3D8400D 18000109
	v_accvgpr_read_b32 v14, a10                                // 0000000054F4: D3D8400E 1800010A
	v_accvgpr_read_b32 v15, a11                                // 0000000054FC: D3D8400F 1800010B
	v_cvt_pk_bf16_f32 v16, v8, v9                              // 000000005504: D2680010 00021308
	v_cvt_pk_bf16_f32 v17, v10, v11                            // 00000000550C: D2680011 0002170A
	v_cvt_pk_bf16_f32 v18, v12, v13                            // 000000005514: D2680012 00021B0C
	v_cvt_pk_bf16_f32 v19, v14, v15                            // 00000000551C: D2680013 00021F0E
	s_nop 1                                                    // 000000005524: BF800001
	v_permlane16_swap_b32_e32 v16, v18                         // 000000005528: 7E20B312
	s_nop 1                                                    // 00000000552C: BF800001
	v_permlane16_swap_b32_e32 v17, v19                         // 000000005530: 7E22B313
	s_nop 1                                                    // 000000005534: BF800001
	buffer_store_dwordx4 v[16:19], v181, s[4:7], 0 offen       // 000000005538: E07C1000 800110B5
	v_add_u32_e32 v181, s62, v181                              // 000000005540: 696B6A3E
	v_accvgpr_read_b32 v8, a4                                  // 000000005544: D3D84008 18000104
	v_accvgpr_read_b32 v9, a5                                  // 00000000554C: D3D84009 18000105
	v_accvgpr_read_b32 v10, a6                                 // 000000005554: D3D8400A 18000106
	v_accvgpr_read_b32 v11, a7                                 // 00000000555C: D3D8400B 18000107
	v_accvgpr_read_b32 v12, a12                                // 000000005564: D3D8400C 1800010C
	v_accvgpr_read_b32 v13, a13                                // 00000000556C: D3D8400D 1800010D
	v_accvgpr_read_b32 v14, a14                                // 000000005574: D3D8400E 1800010E
	v_accvgpr_read_b32 v15, a15                                // 00000000557C: D3D8400F 1800010F
	v_cvt_pk_bf16_f32 v16, v8, v9                              // 000000005584: D2680010 00021308
	v_cvt_pk_bf16_f32 v17, v10, v11                            // 00000000558C: D2680011 0002170A
	v_cvt_pk_bf16_f32 v18, v12, v13                            // 000000005594: D2680012 00021B0C
	v_cvt_pk_bf16_f32 v19, v14, v15                            // 00000000559C: D2680013 00021F0E
	s_nop 1                                                    // 0000000055A4: BF800001
	v_permlane16_swap_b32_e32 v16, v18                         // 0000000055A8: 7E20B312
	s_nop 1                                                    // 0000000055AC: BF800001
	v_permlane16_swap_b32_e32 v17, v19                         // 0000000055B0: 7E22B313
	s_nop 1                                                    // 0000000055B4: BF800001
	buffer_store_dwordx4 v[16:19], v181, s[4:7], 0 offen       // 0000000055B8: E07C1000 800110B5
	v_add_u32_e32 v181, s62, v181                              // 0000000055C0: 696B6A3E
	v_accvgpr_read_b32 v8, a32                                 // 0000000055C4: D3D84008 18000120
	v_accvgpr_read_b32 v9, a33                                 // 0000000055CC: D3D84009 18000121
	v_accvgpr_read_b32 v10, a34                                // 0000000055D4: D3D8400A 18000122
	v_accvgpr_read_b32 v11, a35                                // 0000000055DC: D3D8400B 18000123
	v_accvgpr_read_b32 v12, a40                                // 0000000055E4: D3D8400C 18000128
	v_accvgpr_read_b32 v13, a41                                // 0000000055EC: D3D8400D 18000129
	v_accvgpr_read_b32 v14, a42                                // 0000000055F4: D3D8400E 1800012A
	v_accvgpr_read_b32 v15, a43                                // 0000000055FC: D3D8400F 1800012B
	v_cvt_pk_bf16_f32 v16, v8, v9                              // 000000005604: D2680010 00021308
	v_cvt_pk_bf16_f32 v17, v10, v11                            // 00000000560C: D2680011 0002170A
	v_cvt_pk_bf16_f32 v18, v12, v13                            // 000000005614: D2680012 00021B0C
	v_cvt_pk_bf16_f32 v19, v14, v15                            // 00000000561C: D2680013 00021F0E
	s_nop 1                                                    // 000000005624: BF800001
	v_permlane16_swap_b32_e32 v16, v18                         // 000000005628: 7E20B312
	s_nop 1                                                    // 00000000562C: BF800001
	v_permlane16_swap_b32_e32 v17, v19                         // 000000005630: 7E22B313
	s_nop 1                                                    // 000000005634: BF800001
	buffer_store_dwordx4 v[16:19], v181, s[4:7], 0 offen       // 000000005638: E07C1000 800110B5
	v_add_u32_e32 v181, s62, v181                              // 000000005640: 696B6A3E
	v_accvgpr_read_b32 v8, a36                                 // 000000005644: D3D84008 18000124
	v_accvgpr_read_b32 v9, a37                                 // 00000000564C: D3D84009 18000125
	v_accvgpr_read_b32 v10, a38                                // 000000005654: D3D8400A 18000126
	v_accvgpr_read_b32 v11, a39                                // 00000000565C: D3D8400B 18000127
	v_accvgpr_read_b32 v12, a44                                // 000000005664: D3D8400C 1800012C
	v_accvgpr_read_b32 v13, a45                                // 00000000566C: D3D8400D 1800012D
	v_accvgpr_read_b32 v14, a46                                // 000000005674: D3D8400E 1800012E
	v_accvgpr_read_b32 v15, a47                                // 00000000567C: D3D8400F 1800012F
	v_cvt_pk_bf16_f32 v16, v8, v9                              // 000000005684: D2680010 00021308
	v_cvt_pk_bf16_f32 v17, v10, v11                            // 00000000568C: D2680011 0002170A
	v_cvt_pk_bf16_f32 v18, v12, v13                            // 000000005694: D2680012 00021B0C
	v_cvt_pk_bf16_f32 v19, v14, v15                            // 00000000569C: D2680013 00021F0E
	s_nop 1                                                    // 0000000056A4: BF800001
	v_permlane16_swap_b32_e32 v16, v18                         // 0000000056A8: 7E20B312
	s_nop 1                                                    // 0000000056AC: BF800001
	v_permlane16_swap_b32_e32 v17, v19                         // 0000000056B0: 7E22B313
	s_nop 1                                                    // 0000000056B4: BF800001
	buffer_store_dwordx4 v[16:19], v181, s[4:7], 0 offen       // 0000000056B8: E07C1000 800110B5
	v_add_u32_e32 v181, s62, v181                              // 0000000056C0: 696B6A3E
	v_accvgpr_read_b32 v8, a64                                 // 0000000056C4: D3D84008 18000140
	v_accvgpr_read_b32 v9, a65                                 // 0000000056CC: D3D84009 18000141
	v_accvgpr_read_b32 v10, a66                                // 0000000056D4: D3D8400A 18000142
	v_accvgpr_read_b32 v11, a67                                // 0000000056DC: D3D8400B 18000143
	v_accvgpr_read_b32 v12, a72                                // 0000000056E4: D3D8400C 18000148
	v_accvgpr_read_b32 v13, a73                                // 0000000056EC: D3D8400D 18000149
	v_accvgpr_read_b32 v14, a74                                // 0000000056F4: D3D8400E 1800014A
	v_accvgpr_read_b32 v15, a75                                // 0000000056FC: D3D8400F 1800014B
	v_cvt_pk_bf16_f32 v16, v8, v9                              // 000000005704: D2680010 00021308
	v_cvt_pk_bf16_f32 v17, v10, v11                            // 00000000570C: D2680011 0002170A
	v_cvt_pk_bf16_f32 v18, v12, v13                            // 000000005714: D2680012 00021B0C
	v_cvt_pk_bf16_f32 v19, v14, v15                            // 00000000571C: D2680013 00021F0E
	s_nop 1                                                    // 000000005724: BF800001
	v_permlane16_swap_b32_e32 v16, v18                         // 000000005728: 7E20B312
	s_nop 1                                                    // 00000000572C: BF800001
	v_permlane16_swap_b32_e32 v17, v19                         // 000000005730: 7E22B313
	s_nop 1                                                    // 000000005734: BF800001
	buffer_store_dwordx4 v[16:19], v181, s[4:7], 0 offen       // 000000005738: E07C1000 800110B5
	v_add_u32_e32 v181, s62, v181                              // 000000005740: 696B6A3E
	v_accvgpr_read_b32 v8, a68                                 // 000000005744: D3D84008 18000144
	v_accvgpr_read_b32 v9, a69                                 // 00000000574C: D3D84009 18000145
	v_accvgpr_read_b32 v10, a70                                // 000000005754: D3D8400A 18000146
	v_accvgpr_read_b32 v11, a71                                // 00000000575C: D3D8400B 18000147
	v_accvgpr_read_b32 v12, a76                                // 000000005764: D3D8400C 1800014C
	v_accvgpr_read_b32 v13, a77                                // 00000000576C: D3D8400D 1800014D
	v_accvgpr_read_b32 v14, a78                                // 000000005774: D3D8400E 1800014E
	v_accvgpr_read_b32 v15, a79                                // 00000000577C: D3D8400F 1800014F
	v_cvt_pk_bf16_f32 v16, v8, v9                              // 000000005784: D2680010 00021308
	v_cvt_pk_bf16_f32 v17, v10, v11                            // 00000000578C: D2680011 0002170A
	v_cvt_pk_bf16_f32 v18, v12, v13                            // 000000005794: D2680012 00021B0C
	v_cvt_pk_bf16_f32 v19, v14, v15                            // 00000000579C: D2680013 00021F0E
	s_nop 1                                                    // 0000000057A4: BF800001
	v_permlane16_swap_b32_e32 v16, v18                         // 0000000057A8: 7E20B312
	s_nop 1                                                    // 0000000057AC: BF800001
	v_permlane16_swap_b32_e32 v17, v19                         // 0000000057B0: 7E22B313
	s_nop 1                                                    // 0000000057B4: BF800001
	buffer_store_dwordx4 v[16:19], v181, s[4:7], 0 offen       // 0000000057B8: E07C1000 800110B5
	v_add_u32_e32 v181, s62, v181                              // 0000000057C0: 696B6A3E
	v_accvgpr_read_b32 v8, a96                                 // 0000000057C4: D3D84008 18000160
	v_accvgpr_read_b32 v9, a97                                 // 0000000057CC: D3D84009 18000161
	v_accvgpr_read_b32 v10, a98                                // 0000000057D4: D3D8400A 18000162
	v_accvgpr_read_b32 v11, a99                                // 0000000057DC: D3D8400B 18000163
	v_accvgpr_read_b32 v12, a104                               // 0000000057E4: D3D8400C 18000168
	v_accvgpr_read_b32 v13, a105                               // 0000000057EC: D3D8400D 18000169
	v_accvgpr_read_b32 v14, a106                               // 0000000057F4: D3D8400E 1800016A
	v_accvgpr_read_b32 v15, a107                               // 0000000057FC: D3D8400F 1800016B
	v_cvt_pk_bf16_f32 v16, v8, v9                              // 000000005804: D2680010 00021308
	v_cvt_pk_bf16_f32 v17, v10, v11                            // 00000000580C: D2680011 0002170A
	v_cvt_pk_bf16_f32 v18, v12, v13                            // 000000005814: D2680012 00021B0C
	v_cvt_pk_bf16_f32 v19, v14, v15                            // 00000000581C: D2680013 00021F0E
	s_nop 1                                                    // 000000005824: BF800001
	v_permlane16_swap_b32_e32 v16, v18                         // 000000005828: 7E20B312
	s_nop 1                                                    // 00000000582C: BF800001
	v_permlane16_swap_b32_e32 v17, v19                         // 000000005830: 7E22B313
	s_nop 1                                                    // 000000005834: BF800001
	buffer_store_dwordx4 v[16:19], v181, s[4:7], 0 offen       // 000000005838: E07C1000 800110B5
	v_add_u32_e32 v181, s62, v181                              // 000000005840: 696B6A3E
	v_accvgpr_read_b32 v8, a100                                // 000000005844: D3D84008 18000164
	v_accvgpr_read_b32 v9, a101                                // 00000000584C: D3D84009 18000165
	v_accvgpr_read_b32 v10, a102                               // 000000005854: D3D8400A 18000166
	v_accvgpr_read_b32 v11, a103                               // 00000000585C: D3D8400B 18000167
	v_accvgpr_read_b32 v12, a108                               // 000000005864: D3D8400C 1800016C
	v_accvgpr_read_b32 v13, a109                               // 00000000586C: D3D8400D 1800016D
	v_accvgpr_read_b32 v14, a110                               // 000000005874: D3D8400E 1800016E
	v_accvgpr_read_b32 v15, a111                               // 00000000587C: D3D8400F 1800016F
	v_cvt_pk_bf16_f32 v16, v8, v9                              // 000000005884: D2680010 00021308
	v_cvt_pk_bf16_f32 v17, v10, v11                            // 00000000588C: D2680011 0002170A
	v_cvt_pk_bf16_f32 v18, v12, v13                            // 000000005894: D2680012 00021B0C
	v_cvt_pk_bf16_f32 v19, v14, v15                            // 00000000589C: D2680013 00021F0E
	s_nop 1                                                    // 0000000058A4: BF800001
	v_permlane16_swap_b32_e32 v16, v18                         // 0000000058A8: 7E20B312
	s_nop 1                                                    // 0000000058AC: BF800001
	v_permlane16_swap_b32_e32 v17, v19                         // 0000000058B0: 7E22B313
	s_nop 1                                                    // 0000000058B4: BF800001
	buffer_store_dwordx4 v[16:19], v181, s[4:7], 0 offen       // 0000000058B8: E07C1000 800110B5
	v_add_u32_e32 v181, s62, v181                              // 0000000058C0: 696B6A3E
	v_accvgpr_read_b32 v8, a128                                // 0000000058C4: D3D84008 18000180
	v_accvgpr_read_b32 v9, a129                                // 0000000058CC: D3D84009 18000181
	v_accvgpr_read_b32 v10, a130                               // 0000000058D4: D3D8400A 18000182
	v_accvgpr_read_b32 v11, a131                               // 0000000058DC: D3D8400B 18000183
	v_accvgpr_read_b32 v12, a136                               // 0000000058E4: D3D8400C 18000188
	v_accvgpr_read_b32 v13, a137                               // 0000000058EC: D3D8400D 18000189
	v_accvgpr_read_b32 v14, a138                               // 0000000058F4: D3D8400E 1800018A
	v_accvgpr_read_b32 v15, a139                               // 0000000058FC: D3D8400F 1800018B
	v_cvt_pk_bf16_f32 v16, v8, v9                              // 000000005904: D2680010 00021308
	v_cvt_pk_bf16_f32 v17, v10, v11                            // 00000000590C: D2680011 0002170A
	v_cvt_pk_bf16_f32 v18, v12, v13                            // 000000005914: D2680012 00021B0C
	v_cvt_pk_bf16_f32 v19, v14, v15                            // 00000000591C: D2680013 00021F0E
	s_nop 1                                                    // 000000005924: BF800001
	v_permlane16_swap_b32_e32 v16, v18                         // 000000005928: 7E20B312
	s_nop 1                                                    // 00000000592C: BF800001
	v_permlane16_swap_b32_e32 v17, v19                         // 000000005930: 7E22B313
	s_nop 1                                                    // 000000005934: BF800001
	buffer_store_dwordx4 v[16:19], v181, s[4:7], 0 offen       // 000000005938: E07C1000 800110B5
	v_add_u32_e32 v181, s62, v181                              // 000000005940: 696B6A3E
	v_accvgpr_read_b32 v8, a132                                // 000000005944: D3D84008 18000184
	v_accvgpr_read_b32 v9, a133                                // 00000000594C: D3D84009 18000185
	v_accvgpr_read_b32 v10, a134                               // 000000005954: D3D8400A 18000186
	v_accvgpr_read_b32 v11, a135                               // 00000000595C: D3D8400B 18000187
	v_accvgpr_read_b32 v12, a140                               // 000000005964: D3D8400C 1800018C
	v_accvgpr_read_b32 v13, a141                               // 00000000596C: D3D8400D 1800018D
	v_accvgpr_read_b32 v14, a142                               // 000000005974: D3D8400E 1800018E
	v_accvgpr_read_b32 v15, a143                               // 00000000597C: D3D8400F 1800018F
	v_cvt_pk_bf16_f32 v16, v8, v9                              // 000000005984: D2680010 00021308
	v_cvt_pk_bf16_f32 v17, v10, v11                            // 00000000598C: D2680011 0002170A
	v_cvt_pk_bf16_f32 v18, v12, v13                            // 000000005994: D2680012 00021B0C
	v_cvt_pk_bf16_f32 v19, v14, v15                            // 00000000599C: D2680013 00021F0E
	s_nop 1                                                    // 0000000059A4: BF800001
	v_permlane16_swap_b32_e32 v16, v18                         // 0000000059A8: 7E20B312
	s_nop 1                                                    // 0000000059AC: BF800001
	v_permlane16_swap_b32_e32 v17, v19                         // 0000000059B0: 7E22B313
	s_nop 1                                                    // 0000000059B4: BF800001
	buffer_store_dwordx4 v[16:19], v181, s[4:7], 0 offen       // 0000000059B8: E07C1000 800110B5
	v_add_u32_e32 v181, s62, v181                              // 0000000059C0: 696B6A3E
	v_add_u32_e32 v181, 64, v177                               // 0000000059C4: 696B62C0
	v_accvgpr_read_b32 v8, a16                                 // 0000000059C8: D3D84008 18000110
	v_accvgpr_read_b32 v9, a17                                 // 0000000059D0: D3D84009 18000111
	v_accvgpr_read_b32 v10, a18                                // 0000000059D8: D3D8400A 18000112
	v_accvgpr_read_b32 v11, a19                                // 0000000059E0: D3D8400B 18000113
	v_accvgpr_read_b32 v12, a24                                // 0000000059E8: D3D8400C 18000118
	v_accvgpr_read_b32 v13, a25                                // 0000000059F0: D3D8400D 18000119
	v_accvgpr_read_b32 v14, a26                                // 0000000059F8: D3D8400E 1800011A
	v_accvgpr_read_b32 v15, a27                                // 000000005A00: D3D8400F 1800011B
	v_cvt_pk_bf16_f32 v16, v8, v9                              // 000000005A08: D2680010 00021308
	v_cvt_pk_bf16_f32 v17, v10, v11                            // 000000005A10: D2680011 0002170A
	v_cvt_pk_bf16_f32 v18, v12, v13                            // 000000005A18: D2680012 00021B0C
	v_cvt_pk_bf16_f32 v19, v14, v15                            // 000000005A20: D2680013 00021F0E
	s_nop 1                                                    // 000000005A28: BF800001
	v_permlane16_swap_b32_e32 v16, v18                         // 000000005A2C: 7E20B312
	s_nop 1                                                    // 000000005A30: BF800001
	v_permlane16_swap_b32_e32 v17, v19                         // 000000005A34: 7E22B313
	s_nop 1                                                    // 000000005A38: BF800001
	buffer_store_dwordx4 v[16:19], v181, s[4:7], 0 offen       // 000000005A3C: E07C1000 800110B5
	v_add_u32_e32 v181, s62, v181                              // 000000005A44: 696B6A3E
	v_accvgpr_read_b32 v8, a20                                 // 000000005A48: D3D84008 18000114
	v_accvgpr_read_b32 v9, a21                                 // 000000005A50: D3D84009 18000115
	v_accvgpr_read_b32 v10, a22                                // 000000005A58: D3D8400A 18000116
	v_accvgpr_read_b32 v11, a23                                // 000000005A60: D3D8400B 18000117
	v_accvgpr_read_b32 v12, a28                                // 000000005A68: D3D8400C 1800011C
	v_accvgpr_read_b32 v13, a29                                // 000000005A70: D3D8400D 1800011D
	v_accvgpr_read_b32 v14, a30                                // 000000005A78: D3D8400E 1800011E
	v_accvgpr_read_b32 v15, a31                                // 000000005A80: D3D8400F 1800011F
	v_cvt_pk_bf16_f32 v16, v8, v9                              // 000000005A88: D2680010 00021308
	v_cvt_pk_bf16_f32 v17, v10, v11                            // 000000005A90: D2680011 0002170A
	v_cvt_pk_bf16_f32 v18, v12, v13                            // 000000005A98: D2680012 00021B0C
	v_cvt_pk_bf16_f32 v19, v14, v15                            // 000000005AA0: D2680013 00021F0E
	s_nop 1                                                    // 000000005AA8: BF800001
	v_permlane16_swap_b32_e32 v16, v18                         // 000000005AAC: 7E20B312
	s_nop 1                                                    // 000000005AB0: BF800001
	v_permlane16_swap_b32_e32 v17, v19                         // 000000005AB4: 7E22B313
	s_nop 1                                                    // 000000005AB8: BF800001
	buffer_store_dwordx4 v[16:19], v181, s[4:7], 0 offen       // 000000005ABC: E07C1000 800110B5
	v_add_u32_e32 v181, s62, v181                              // 000000005AC4: 696B6A3E
	v_accvgpr_read_b32 v8, a48                                 // 000000005AC8: D3D84008 18000130
	v_accvgpr_read_b32 v9, a49                                 // 000000005AD0: D3D84009 18000131
	v_accvgpr_read_b32 v10, a50                                // 000000005AD8: D3D8400A 18000132
	v_accvgpr_read_b32 v11, a51                                // 000000005AE0: D3D8400B 18000133
	v_accvgpr_read_b32 v12, a56                                // 000000005AE8: D3D8400C 18000138
	v_accvgpr_read_b32 v13, a57                                // 000000005AF0: D3D8400D 18000139
	v_accvgpr_read_b32 v14, a58                                // 000000005AF8: D3D8400E 1800013A
	v_accvgpr_read_b32 v15, a59                                // 000000005B00: D3D8400F 1800013B
	v_cvt_pk_bf16_f32 v16, v8, v9                              // 000000005B08: D2680010 00021308
	v_cvt_pk_bf16_f32 v17, v10, v11                            // 000000005B10: D2680011 0002170A
	v_cvt_pk_bf16_f32 v18, v12, v13                            // 000000005B18: D2680012 00021B0C
	v_cvt_pk_bf16_f32 v19, v14, v15                            // 000000005B20: D2680013 00021F0E
	s_nop 1                                                    // 000000005B28: BF800001
	v_permlane16_swap_b32_e32 v16, v18                         // 000000005B2C: 7E20B312
	s_nop 1                                                    // 000000005B30: BF800001
	v_permlane16_swap_b32_e32 v17, v19                         // 000000005B34: 7E22B313
	s_nop 1                                                    // 000000005B38: BF800001
	buffer_store_dwordx4 v[16:19], v181, s[4:7], 0 offen       // 000000005B3C: E07C1000 800110B5
	v_add_u32_e32 v181, s62, v181                              // 000000005B44: 696B6A3E
	v_accvgpr_read_b32 v8, a52                                 // 000000005B48: D3D84008 18000134
	v_accvgpr_read_b32 v9, a53                                 // 000000005B50: D3D84009 18000135
	v_accvgpr_read_b32 v10, a54                                // 000000005B58: D3D8400A 18000136
	v_accvgpr_read_b32 v11, a55                                // 000000005B60: D3D8400B 18000137
	v_accvgpr_read_b32 v12, a60                                // 000000005B68: D3D8400C 1800013C
	v_accvgpr_read_b32 v13, a61                                // 000000005B70: D3D8400D 1800013D
	v_accvgpr_read_b32 v14, a62                                // 000000005B78: D3D8400E 1800013E
	v_accvgpr_read_b32 v15, a63                                // 000000005B80: D3D8400F 1800013F
	v_cvt_pk_bf16_f32 v16, v8, v9                              // 000000005B88: D2680010 00021308
	v_cvt_pk_bf16_f32 v17, v10, v11                            // 000000005B90: D2680011 0002170A
	v_cvt_pk_bf16_f32 v18, v12, v13                            // 000000005B98: D2680012 00021B0C
	v_cvt_pk_bf16_f32 v19, v14, v15                            // 000000005BA0: D2680013 00021F0E
	s_nop 1                                                    // 000000005BA8: BF800001
	v_permlane16_swap_b32_e32 v16, v18                         // 000000005BAC: 7E20B312
	s_nop 1                                                    // 000000005BB0: BF800001
	v_permlane16_swap_b32_e32 v17, v19                         // 000000005BB4: 7E22B313
	s_nop 1                                                    // 000000005BB8: BF800001
	buffer_store_dwordx4 v[16:19], v181, s[4:7], 0 offen       // 000000005BBC: E07C1000 800110B5
	v_add_u32_e32 v181, s62, v181                              // 000000005BC4: 696B6A3E
	v_accvgpr_read_b32 v8, a80                                 // 000000005BC8: D3D84008 18000150
	v_accvgpr_read_b32 v9, a81                                 // 000000005BD0: D3D84009 18000151
	v_accvgpr_read_b32 v10, a82                                // 000000005BD8: D3D8400A 18000152
	v_accvgpr_read_b32 v11, a83                                // 000000005BE0: D3D8400B 18000153
	v_accvgpr_read_b32 v12, a88                                // 000000005BE8: D3D8400C 18000158
	v_accvgpr_read_b32 v13, a89                                // 000000005BF0: D3D8400D 18000159
	v_accvgpr_read_b32 v14, a90                                // 000000005BF8: D3D8400E 1800015A
	v_accvgpr_read_b32 v15, a91                                // 000000005C00: D3D8400F 1800015B
	v_cvt_pk_bf16_f32 v16, v8, v9                              // 000000005C08: D2680010 00021308
	v_cvt_pk_bf16_f32 v17, v10, v11                            // 000000005C10: D2680011 0002170A
	v_cvt_pk_bf16_f32 v18, v12, v13                            // 000000005C18: D2680012 00021B0C
	v_cvt_pk_bf16_f32 v19, v14, v15                            // 000000005C20: D2680013 00021F0E
	s_nop 1                                                    // 000000005C28: BF800001
	v_permlane16_swap_b32_e32 v16, v18                         // 000000005C2C: 7E20B312
	s_nop 1                                                    // 000000005C30: BF800001
	v_permlane16_swap_b32_e32 v17, v19                         // 000000005C34: 7E22B313
	s_nop 1                                                    // 000000005C38: BF800001
	buffer_store_dwordx4 v[16:19], v181, s[4:7], 0 offen       // 000000005C3C: E07C1000 800110B5
	v_add_u32_e32 v181, s62, v181                              // 000000005C44: 696B6A3E
	v_accvgpr_read_b32 v8, a84                                 // 000000005C48: D3D84008 18000154
	v_accvgpr_read_b32 v9, a85                                 // 000000005C50: D3D84009 18000155
	v_accvgpr_read_b32 v10, a86                                // 000000005C58: D3D8400A 18000156
	v_accvgpr_read_b32 v11, a87                                // 000000005C60: D3D8400B 18000157
	v_accvgpr_read_b32 v12, a92                                // 000000005C68: D3D8400C 1800015C
	v_accvgpr_read_b32 v13, a93                                // 000000005C70: D3D8400D 1800015D
	v_accvgpr_read_b32 v14, a94                                // 000000005C78: D3D8400E 1800015E
	v_accvgpr_read_b32 v15, a95                                // 000000005C80: D3D8400F 1800015F
	v_cvt_pk_bf16_f32 v16, v8, v9                              // 000000005C88: D2680010 00021308
	v_cvt_pk_bf16_f32 v17, v10, v11                            // 000000005C90: D2680011 0002170A
	v_cvt_pk_bf16_f32 v18, v12, v13                            // 000000005C98: D2680012 00021B0C
	v_cvt_pk_bf16_f32 v19, v14, v15                            // 000000005CA0: D2680013 00021F0E
	s_nop 1                                                    // 000000005CA8: BF800001
	v_permlane16_swap_b32_e32 v16, v18                         // 000000005CAC: 7E20B312
	s_nop 1                                                    // 000000005CB0: BF800001
	v_permlane16_swap_b32_e32 v17, v19                         // 000000005CB4: 7E22B313
	s_nop 1                                                    // 000000005CB8: BF800001
	buffer_store_dwordx4 v[16:19], v181, s[4:7], 0 offen       // 000000005CBC: E07C1000 800110B5
	v_add_u32_e32 v181, s62, v181                              // 000000005CC4: 696B6A3E
	v_accvgpr_read_b32 v8, a112                                // 000000005CC8: D3D84008 18000170
	v_accvgpr_read_b32 v9, a113                                // 000000005CD0: D3D84009 18000171
	v_accvgpr_read_b32 v10, a114                               // 000000005CD8: D3D8400A 18000172
	v_accvgpr_read_b32 v11, a115                               // 000000005CE0: D3D8400B 18000173
	v_accvgpr_read_b32 v12, a120                               // 000000005CE8: D3D8400C 18000178
	v_accvgpr_read_b32 v13, a121                               // 000000005CF0: D3D8400D 18000179
	v_accvgpr_read_b32 v14, a122                               // 000000005CF8: D3D8400E 1800017A
	v_accvgpr_read_b32 v15, a123                               // 000000005D00: D3D8400F 1800017B
	v_cvt_pk_bf16_f32 v16, v8, v9                              // 000000005D08: D2680010 00021308
	v_cvt_pk_bf16_f32 v17, v10, v11                            // 000000005D10: D2680011 0002170A
	v_cvt_pk_bf16_f32 v18, v12, v13                            // 000000005D18: D2680012 00021B0C
	v_cvt_pk_bf16_f32 v19, v14, v15                            // 000000005D20: D2680013 00021F0E
	s_nop 1                                                    // 000000005D28: BF800001
	v_permlane16_swap_b32_e32 v16, v18                         // 000000005D2C: 7E20B312
	s_nop 1                                                    // 000000005D30: BF800001
	v_permlane16_swap_b32_e32 v17, v19                         // 000000005D34: 7E22B313
	s_nop 1                                                    // 000000005D38: BF800001
	buffer_store_dwordx4 v[16:19], v181, s[4:7], 0 offen       // 000000005D3C: E07C1000 800110B5
	v_add_u32_e32 v181, s62, v181                              // 000000005D44: 696B6A3E
	v_accvgpr_read_b32 v8, a116                                // 000000005D48: D3D84008 18000174
	v_accvgpr_read_b32 v9, a117                                // 000000005D50: D3D84009 18000175
	v_accvgpr_read_b32 v10, a118                               // 000000005D58: D3D8400A 18000176
	v_accvgpr_read_b32 v11, a119                               // 000000005D60: D3D8400B 18000177
	v_accvgpr_read_b32 v12, a124                               // 000000005D68: D3D8400C 1800017C
	v_accvgpr_read_b32 v13, a125                               // 000000005D70: D3D8400D 1800017D
	v_accvgpr_read_b32 v14, a126                               // 000000005D78: D3D8400E 1800017E
	v_accvgpr_read_b32 v15, a127                               // 000000005D80: D3D8400F 1800017F
	v_cvt_pk_bf16_f32 v16, v8, v9                              // 000000005D88: D2680010 00021308
	v_cvt_pk_bf16_f32 v17, v10, v11                            // 000000005D90: D2680011 0002170A
	v_cvt_pk_bf16_f32 v18, v12, v13                            // 000000005D98: D2680012 00021B0C
	v_cvt_pk_bf16_f32 v19, v14, v15                            // 000000005DA0: D2680013 00021F0E
	s_nop 1                                                    // 000000005DA8: BF800001
	v_permlane16_swap_b32_e32 v16, v18                         // 000000005DAC: 7E20B312
	s_nop 1                                                    // 000000005DB0: BF800001
	v_permlane16_swap_b32_e32 v17, v19                         // 000000005DB4: 7E22B313
	s_nop 1                                                    // 000000005DB8: BF800001
	buffer_store_dwordx4 v[16:19], v181, s[4:7], 0 offen       // 000000005DBC: E07C1000 800110B5
	v_add_u32_e32 v181, s62, v181                              // 000000005DC4: 696B6A3E
	v_accvgpr_read_b32 v8, a144                                // 000000005DC8: D3D84008 18000190
	v_accvgpr_read_b32 v9, a145                                // 000000005DD0: D3D84009 18000191
	v_accvgpr_read_b32 v10, a146                               // 000000005DD8: D3D8400A 18000192
	v_accvgpr_read_b32 v11, a147                               // 000000005DE0: D3D8400B 18000193
	v_accvgpr_read_b32 v12, a152                               // 000000005DE8: D3D8400C 18000198
	v_accvgpr_read_b32 v13, a153                               // 000000005DF0: D3D8400D 18000199
	v_accvgpr_read_b32 v14, a154                               // 000000005DF8: D3D8400E 1800019A
	v_accvgpr_read_b32 v15, a155                               // 000000005E00: D3D8400F 1800019B
	v_cvt_pk_bf16_f32 v16, v8, v9                              // 000000005E08: D2680010 00021308
	v_cvt_pk_bf16_f32 v17, v10, v11                            // 000000005E10: D2680011 0002170A
	v_cvt_pk_bf16_f32 v18, v12, v13                            // 000000005E18: D2680012 00021B0C
	v_cvt_pk_bf16_f32 v19, v14, v15                            // 000000005E20: D2680013 00021F0E
	s_nop 1                                                    // 000000005E28: BF800001
	v_permlane16_swap_b32_e32 v16, v18                         // 000000005E2C: 7E20B312
	s_nop 1                                                    // 000000005E30: BF800001
	v_permlane16_swap_b32_e32 v17, v19                         // 000000005E34: 7E22B313
	s_nop 1                                                    // 000000005E38: BF800001
	buffer_store_dwordx4 v[16:19], v181, s[4:7], 0 offen       // 000000005E3C: E07C1000 800110B5
	v_add_u32_e32 v181, s62, v181                              // 000000005E44: 696B6A3E
	v_accvgpr_read_b32 v8, a148                                // 000000005E48: D3D84008 18000194
	v_accvgpr_read_b32 v9, a149                                // 000000005E50: D3D84009 18000195
	v_accvgpr_read_b32 v10, a150                               // 000000005E58: D3D8400A 18000196
	v_accvgpr_read_b32 v11, a151                               // 000000005E60: D3D8400B 18000197
	v_accvgpr_read_b32 v12, a156                               // 000000005E68: D3D8400C 1800019C
	v_accvgpr_read_b32 v13, a157                               // 000000005E70: D3D8400D 1800019D
	v_accvgpr_read_b32 v14, a158                               // 000000005E78: D3D8400E 1800019E
	v_accvgpr_read_b32 v15, a159                               // 000000005E80: D3D8400F 1800019F
	v_cvt_pk_bf16_f32 v16, v8, v9                              // 000000005E88: D2680010 00021308
	v_cvt_pk_bf16_f32 v17, v10, v11                            // 000000005E90: D2680011 0002170A
	v_cvt_pk_bf16_f32 v18, v12, v13                            // 000000005E98: D2680012 00021B0C
	v_cvt_pk_bf16_f32 v19, v14, v15                            // 000000005EA0: D2680013 00021F0E
	s_nop 1                                                    // 000000005EA8: BF800001
	v_permlane16_swap_b32_e32 v16, v18                         // 000000005EAC: 7E20B312
	s_nop 1                                                    // 000000005EB0: BF800001
	v_permlane16_swap_b32_e32 v17, v19                         // 000000005EB4: 7E22B313
	s_nop 1                                                    // 000000005EB8: BF800001
	buffer_store_dwordx4 v[16:19], v181, s[4:7], 0 offen       // 000000005EBC: E07C1000 800110B5
	v_add_u32_e32 v181, s62, v181                              // 000000005EC4: 696B6A3E
	s_branch label_0F3C                                        // 000000005EC8: BF820289

0000000000005ecc <label_0CB3>:
	s_mul_i32 s62, s36, 16                                     // 000000005ECC: 923E9024
	s_cmp_lt_i32 s60, s44                                      // 000000005ED0: BF042C3C
	s_cbranch_scc0 label_0F3C                                  // 000000005ED4: BF840286
	s_addk_i32 s60, 0x20                                       // 000000005ED8: B73C0020
	v_add_u32_e32 v181, 0, v177                                // 000000005EDC: 696B6280
	v_accvgpr_read_b32 v8, a0                                  // 000000005EE0: D3D84008 18000100
	v_accvgpr_read_b32 v9, a1                                  // 000000005EE8: D3D84009 18000101
	v_accvgpr_read_b32 v10, a2                                 // 000000005EF0: D3D8400A 18000102
	v_accvgpr_read_b32 v11, a3                                 // 000000005EF8: D3D8400B 18000103
	v_accvgpr_read_b32 v12, a8                                 // 000000005F00: D3D8400C 18000108
	v_accvgpr_read_b32 v13, a9                                 // 000000005F08: D3D8400D 18000109
	v_accvgpr_read_b32 v14, a10                                // 000000005F10: D3D8400E 1800010A
	v_accvgpr_read_b32 v15, a11                                // 000000005F18: D3D8400F 1800010B
	v_cvt_pk_bf16_f32 v16, v8, v9                              // 000000005F20: D2680010 00021308
	v_cvt_pk_bf16_f32 v17, v10, v11                            // 000000005F28: D2680011 0002170A
	v_cvt_pk_bf16_f32 v18, v12, v13                            // 000000005F30: D2680012 00021B0C
	v_cvt_pk_bf16_f32 v19, v14, v15                            // 000000005F38: D2680013 00021F0E
	s_nop 1                                                    // 000000005F40: BF800001
	v_permlane16_swap_b32_e32 v16, v18                         // 000000005F44: 7E20B312
	s_nop 1                                                    // 000000005F48: BF800001
	v_permlane16_swap_b32_e32 v17, v19                         // 000000005F4C: 7E22B313
	s_nop 1                                                    // 000000005F50: BF800001
	buffer_store_dwordx4 v[16:19], v181, s[4:7], 0 offen       // 000000005F54: E07C1000 800110B5
	v_add_u32_e32 v181, s62, v181                              // 000000005F5C: 696B6A3E
	v_accvgpr_read_b32 v8, a4                                  // 000000005F60: D3D84008 18000104
	v_accvgpr_read_b32 v9, a5                                  // 000000005F68: D3D84009 18000105
	v_accvgpr_read_b32 v10, a6                                 // 000000005F70: D3D8400A 18000106
	v_accvgpr_read_b32 v11, a7                                 // 000000005F78: D3D8400B 18000107
	v_accvgpr_read_b32 v12, a12                                // 000000005F80: D3D8400C 1800010C
	v_accvgpr_read_b32 v13, a13                                // 000000005F88: D3D8400D 1800010D
	v_accvgpr_read_b32 v14, a14                                // 000000005F90: D3D8400E 1800010E
	v_accvgpr_read_b32 v15, a15                                // 000000005F98: D3D8400F 1800010F
	v_cvt_pk_bf16_f32 v16, v8, v9                              // 000000005FA0: D2680010 00021308
	v_cvt_pk_bf16_f32 v17, v10, v11                            // 000000005FA8: D2680011 0002170A
	v_cvt_pk_bf16_f32 v18, v12, v13                            // 000000005FB0: D2680012 00021B0C
	v_cvt_pk_bf16_f32 v19, v14, v15                            // 000000005FB8: D2680013 00021F0E
	s_nop 1                                                    // 000000005FC0: BF800001
	v_permlane16_swap_b32_e32 v16, v18                         // 000000005FC4: 7E20B312
	s_nop 1                                                    // 000000005FC8: BF800001
	v_permlane16_swap_b32_e32 v17, v19                         // 000000005FCC: 7E22B313
	s_nop 1                                                    // 000000005FD0: BF800001
	buffer_store_dwordx4 v[16:19], v181, s[4:7], 0 offen       // 000000005FD4: E07C1000 800110B5
	v_add_u32_e32 v181, s62, v181                              // 000000005FDC: 696B6A3E
	v_accvgpr_read_b32 v8, a32                                 // 000000005FE0: D3D84008 18000120
	v_accvgpr_read_b32 v9, a33                                 // 000000005FE8: D3D84009 18000121
	v_accvgpr_read_b32 v10, a34                                // 000000005FF0: D3D8400A 18000122
	v_accvgpr_read_b32 v11, a35                                // 000000005FF8: D3D8400B 18000123
	v_accvgpr_read_b32 v12, a40                                // 000000006000: D3D8400C 18000128
	v_accvgpr_read_b32 v13, a41                                // 000000006008: D3D8400D 18000129
	v_accvgpr_read_b32 v14, a42                                // 000000006010: D3D8400E 1800012A
	v_accvgpr_read_b32 v15, a43                                // 000000006018: D3D8400F 1800012B
	v_cvt_pk_bf16_f32 v16, v8, v9                              // 000000006020: D2680010 00021308
	v_cvt_pk_bf16_f32 v17, v10, v11                            // 000000006028: D2680011 0002170A
	v_cvt_pk_bf16_f32 v18, v12, v13                            // 000000006030: D2680012 00021B0C
	v_cvt_pk_bf16_f32 v19, v14, v15                            // 000000006038: D2680013 00021F0E
	s_nop 1                                                    // 000000006040: BF800001
	v_permlane16_swap_b32_e32 v16, v18                         // 000000006044: 7E20B312
	s_nop 1                                                    // 000000006048: BF800001
	v_permlane16_swap_b32_e32 v17, v19                         // 00000000604C: 7E22B313
	s_nop 1                                                    // 000000006050: BF800001
	buffer_store_dwordx4 v[16:19], v181, s[4:7], 0 offen       // 000000006054: E07C1000 800110B5
	v_add_u32_e32 v181, s62, v181                              // 00000000605C: 696B6A3E
	v_accvgpr_read_b32 v8, a36                                 // 000000006060: D3D84008 18000124
	v_accvgpr_read_b32 v9, a37                                 // 000000006068: D3D84009 18000125
	v_accvgpr_read_b32 v10, a38                                // 000000006070: D3D8400A 18000126
	v_accvgpr_read_b32 v11, a39                                // 000000006078: D3D8400B 18000127
	v_accvgpr_read_b32 v12, a44                                // 000000006080: D3D8400C 1800012C
	v_accvgpr_read_b32 v13, a45                                // 000000006088: D3D8400D 1800012D
	v_accvgpr_read_b32 v14, a46                                // 000000006090: D3D8400E 1800012E
	v_accvgpr_read_b32 v15, a47                                // 000000006098: D3D8400F 1800012F
	v_cvt_pk_bf16_f32 v16, v8, v9                              // 0000000060A0: D2680010 00021308
	v_cvt_pk_bf16_f32 v17, v10, v11                            // 0000000060A8: D2680011 0002170A
	v_cvt_pk_bf16_f32 v18, v12, v13                            // 0000000060B0: D2680012 00021B0C
	v_cvt_pk_bf16_f32 v19, v14, v15                            // 0000000060B8: D2680013 00021F0E
	s_nop 1                                                    // 0000000060C0: BF800001
	v_permlane16_swap_b32_e32 v16, v18                         // 0000000060C4: 7E20B312
	s_nop 1                                                    // 0000000060C8: BF800001
	v_permlane16_swap_b32_e32 v17, v19                         // 0000000060CC: 7E22B313
	s_nop 1                                                    // 0000000060D0: BF800001
	buffer_store_dwordx4 v[16:19], v181, s[4:7], 0 offen       // 0000000060D4: E07C1000 800110B5
	v_add_u32_e32 v181, s62, v181                              // 0000000060DC: 696B6A3E
	v_accvgpr_read_b32 v8, a64                                 // 0000000060E0: D3D84008 18000140
	v_accvgpr_read_b32 v9, a65                                 // 0000000060E8: D3D84009 18000141
	v_accvgpr_read_b32 v10, a66                                // 0000000060F0: D3D8400A 18000142
	v_accvgpr_read_b32 v11, a67                                // 0000000060F8: D3D8400B 18000143
	v_accvgpr_read_b32 v12, a72                                // 000000006100: D3D8400C 18000148
	v_accvgpr_read_b32 v13, a73                                // 000000006108: D3D8400D 18000149
	v_accvgpr_read_b32 v14, a74                                // 000000006110: D3D8400E 1800014A
	v_accvgpr_read_b32 v15, a75                                // 000000006118: D3D8400F 1800014B
	v_cvt_pk_bf16_f32 v16, v8, v9                              // 000000006120: D2680010 00021308
	v_cvt_pk_bf16_f32 v17, v10, v11                            // 000000006128: D2680011 0002170A
	v_cvt_pk_bf16_f32 v18, v12, v13                            // 000000006130: D2680012 00021B0C
	v_cvt_pk_bf16_f32 v19, v14, v15                            // 000000006138: D2680013 00021F0E
	s_nop 1                                                    // 000000006140: BF800001
	v_permlane16_swap_b32_e32 v16, v18                         // 000000006144: 7E20B312
	s_nop 1                                                    // 000000006148: BF800001
	v_permlane16_swap_b32_e32 v17, v19                         // 00000000614C: 7E22B313
	s_nop 1                                                    // 000000006150: BF800001
	buffer_store_dwordx4 v[16:19], v181, s[4:7], 0 offen       // 000000006154: E07C1000 800110B5
	v_add_u32_e32 v181, s62, v181                              // 00000000615C: 696B6A3E
	v_accvgpr_read_b32 v8, a68                                 // 000000006160: D3D84008 18000144
	v_accvgpr_read_b32 v9, a69                                 // 000000006168: D3D84009 18000145
	v_accvgpr_read_b32 v10, a70                                // 000000006170: D3D8400A 18000146
	v_accvgpr_read_b32 v11, a71                                // 000000006178: D3D8400B 18000147
	v_accvgpr_read_b32 v12, a76                                // 000000006180: D3D8400C 1800014C
	v_accvgpr_read_b32 v13, a77                                // 000000006188: D3D8400D 1800014D
	v_accvgpr_read_b32 v14, a78                                // 000000006190: D3D8400E 1800014E
	v_accvgpr_read_b32 v15, a79                                // 000000006198: D3D8400F 1800014F
	v_cvt_pk_bf16_f32 v16, v8, v9                              // 0000000061A0: D2680010 00021308
	v_cvt_pk_bf16_f32 v17, v10, v11                            // 0000000061A8: D2680011 0002170A
	v_cvt_pk_bf16_f32 v18, v12, v13                            // 0000000061B0: D2680012 00021B0C
	v_cvt_pk_bf16_f32 v19, v14, v15                            // 0000000061B8: D2680013 00021F0E
	s_nop 1                                                    // 0000000061C0: BF800001
	v_permlane16_swap_b32_e32 v16, v18                         // 0000000061C4: 7E20B312
	s_nop 1                                                    // 0000000061C8: BF800001
	v_permlane16_swap_b32_e32 v17, v19                         // 0000000061CC: 7E22B313
	s_nop 1                                                    // 0000000061D0: BF800001
	buffer_store_dwordx4 v[16:19], v181, s[4:7], 0 offen       // 0000000061D4: E07C1000 800110B5
	v_add_u32_e32 v181, s62, v181                              // 0000000061DC: 696B6A3E
	v_accvgpr_read_b32 v8, a96                                 // 0000000061E0: D3D84008 18000160
	v_accvgpr_read_b32 v9, a97                                 // 0000000061E8: D3D84009 18000161
	v_accvgpr_read_b32 v10, a98                                // 0000000061F0: D3D8400A 18000162
	v_accvgpr_read_b32 v11, a99                                // 0000000061F8: D3D8400B 18000163
	v_accvgpr_read_b32 v12, a104                               // 000000006200: D3D8400C 18000168
	v_accvgpr_read_b32 v13, a105                               // 000000006208: D3D8400D 18000169
	v_accvgpr_read_b32 v14, a106                               // 000000006210: D3D8400E 1800016A
	v_accvgpr_read_b32 v15, a107                               // 000000006218: D3D8400F 1800016B
	v_cvt_pk_bf16_f32 v16, v8, v9                              // 000000006220: D2680010 00021308
	v_cvt_pk_bf16_f32 v17, v10, v11                            // 000000006228: D2680011 0002170A
	v_cvt_pk_bf16_f32 v18, v12, v13                            // 000000006230: D2680012 00021B0C
	v_cvt_pk_bf16_f32 v19, v14, v15                            // 000000006238: D2680013 00021F0E
	s_nop 1                                                    // 000000006240: BF800001
	v_permlane16_swap_b32_e32 v16, v18                         // 000000006244: 7E20B312
	s_nop 1                                                    // 000000006248: BF800001
	v_permlane16_swap_b32_e32 v17, v19                         // 00000000624C: 7E22B313
	s_nop 1                                                    // 000000006250: BF800001
	buffer_store_dwordx4 v[16:19], v181, s[4:7], 0 offen       // 000000006254: E07C1000 800110B5
	v_add_u32_e32 v181, s62, v181                              // 00000000625C: 696B6A3E
	v_accvgpr_read_b32 v8, a100                                // 000000006260: D3D84008 18000164
	v_accvgpr_read_b32 v9, a101                                // 000000006268: D3D84009 18000165
	v_accvgpr_read_b32 v10, a102                               // 000000006270: D3D8400A 18000166
	v_accvgpr_read_b32 v11, a103                               // 000000006278: D3D8400B 18000167
	v_accvgpr_read_b32 v12, a108                               // 000000006280: D3D8400C 1800016C
	v_accvgpr_read_b32 v13, a109                               // 000000006288: D3D8400D 1800016D
	v_accvgpr_read_b32 v14, a110                               // 000000006290: D3D8400E 1800016E
	v_accvgpr_read_b32 v15, a111                               // 000000006298: D3D8400F 1800016F
	v_cvt_pk_bf16_f32 v16, v8, v9                              // 0000000062A0: D2680010 00021308
	v_cvt_pk_bf16_f32 v17, v10, v11                            // 0000000062A8: D2680011 0002170A
	v_cvt_pk_bf16_f32 v18, v12, v13                            // 0000000062B0: D2680012 00021B0C
	v_cvt_pk_bf16_f32 v19, v14, v15                            // 0000000062B8: D2680013 00021F0E
	s_nop 1                                                    // 0000000062C0: BF800001
	v_permlane16_swap_b32_e32 v16, v18                         // 0000000062C4: 7E20B312
	s_nop 1                                                    // 0000000062C8: BF800001
	v_permlane16_swap_b32_e32 v17, v19                         // 0000000062CC: 7E22B313
	s_nop 1                                                    // 0000000062D0: BF800001
	buffer_store_dwordx4 v[16:19], v181, s[4:7], 0 offen       // 0000000062D4: E07C1000 800110B5
	v_add_u32_e32 v181, s62, v181                              // 0000000062DC: 696B6A3E
	v_accvgpr_read_b32 v8, a128                                // 0000000062E0: D3D84008 18000180
	v_accvgpr_read_b32 v9, a129                                // 0000000062E8: D3D84009 18000181
	v_accvgpr_read_b32 v10, a130                               // 0000000062F0: D3D8400A 18000182
	v_accvgpr_read_b32 v11, a131                               // 0000000062F8: D3D8400B 18000183
	v_accvgpr_read_b32 v12, a136                               // 000000006300: D3D8400C 18000188
	v_accvgpr_read_b32 v13, a137                               // 000000006308: D3D8400D 18000189
	v_accvgpr_read_b32 v14, a138                               // 000000006310: D3D8400E 1800018A
	v_accvgpr_read_b32 v15, a139                               // 000000006318: D3D8400F 1800018B
	v_cvt_pk_bf16_f32 v16, v8, v9                              // 000000006320: D2680010 00021308
	v_cvt_pk_bf16_f32 v17, v10, v11                            // 000000006328: D2680011 0002170A
	v_cvt_pk_bf16_f32 v18, v12, v13                            // 000000006330: D2680012 00021B0C
	v_cvt_pk_bf16_f32 v19, v14, v15                            // 000000006338: D2680013 00021F0E
	s_nop 1                                                    // 000000006340: BF800001
	v_permlane16_swap_b32_e32 v16, v18                         // 000000006344: 7E20B312
	s_nop 1                                                    // 000000006348: BF800001
	v_permlane16_swap_b32_e32 v17, v19                         // 00000000634C: 7E22B313
	s_nop 1                                                    // 000000006350: BF800001
	buffer_store_dwordx4 v[16:19], v181, s[4:7], 0 offen       // 000000006354: E07C1000 800110B5
	v_add_u32_e32 v181, s62, v181                              // 00000000635C: 696B6A3E
	v_accvgpr_read_b32 v8, a132                                // 000000006360: D3D84008 18000184
	v_accvgpr_read_b32 v9, a133                                // 000000006368: D3D84009 18000185
	v_accvgpr_read_b32 v10, a134                               // 000000006370: D3D8400A 18000186
	v_accvgpr_read_b32 v11, a135                               // 000000006378: D3D8400B 18000187
	v_accvgpr_read_b32 v12, a140                               // 000000006380: D3D8400C 1800018C
	v_accvgpr_read_b32 v13, a141                               // 000000006388: D3D8400D 1800018D
	v_accvgpr_read_b32 v14, a142                               // 000000006390: D3D8400E 1800018E
	v_accvgpr_read_b32 v15, a143                               // 000000006398: D3D8400F 1800018F
	v_cvt_pk_bf16_f32 v16, v8, v9                              // 0000000063A0: D2680010 00021308
	v_cvt_pk_bf16_f32 v17, v10, v11                            // 0000000063A8: D2680011 0002170A
	v_cvt_pk_bf16_f32 v18, v12, v13                            // 0000000063B0: D2680012 00021B0C
	v_cvt_pk_bf16_f32 v19, v14, v15                            // 0000000063B8: D2680013 00021F0E
	s_nop 1                                                    // 0000000063C0: BF800001
	v_permlane16_swap_b32_e32 v16, v18                         // 0000000063C4: 7E20B312
	s_nop 1                                                    // 0000000063C8: BF800001
	v_permlane16_swap_b32_e32 v17, v19                         // 0000000063CC: 7E22B313
	s_nop 1                                                    // 0000000063D0: BF800001
	buffer_store_dwordx4 v[16:19], v181, s[4:7], 0 offen       // 0000000063D4: E07C1000 800110B5
	v_add_u32_e32 v181, s62, v181                              // 0000000063DC: 696B6A3E
	s_cmp_lt_i32 s60, s44                                      // 0000000063E0: BF042C3C
	s_cbranch_scc0 label_0F3C                                  // 0000000063E4: BF840142
	s_addk_i32 s60, 0x20                                       // 0000000063E8: B73C0020
	v_add_u32_e32 v181, 64, v177                               // 0000000063EC: 696B62C0
	v_accvgpr_read_b32 v8, a16                                 // 0000000063F0: D3D84008 18000110
	v_accvgpr_read_b32 v9, a17                                 // 0000000063F8: D3D84009 18000111
	v_accvgpr_read_b32 v10, a18                                // 000000006400: D3D8400A 18000112
	v_accvgpr_read_b32 v11, a19                                // 000000006408: D3D8400B 18000113
	v_accvgpr_read_b32 v12, a24                                // 000000006410: D3D8400C 18000118
	v_accvgpr_read_b32 v13, a25                                // 000000006418: D3D8400D 18000119
	v_accvgpr_read_b32 v14, a26                                // 000000006420: D3D8400E 1800011A
	v_accvgpr_read_b32 v15, a27                                // 000000006428: D3D8400F 1800011B
	v_cvt_pk_bf16_f32 v16, v8, v9                              // 000000006430: D2680010 00021308
	v_cvt_pk_bf16_f32 v17, v10, v11                            // 000000006438: D2680011 0002170A
	v_cvt_pk_bf16_f32 v18, v12, v13                            // 000000006440: D2680012 00021B0C
	v_cvt_pk_bf16_f32 v19, v14, v15                            // 000000006448: D2680013 00021F0E
	s_nop 1                                                    // 000000006450: BF800001
	v_permlane16_swap_b32_e32 v16, v18                         // 000000006454: 7E20B312
	s_nop 1                                                    // 000000006458: BF800001
	v_permlane16_swap_b32_e32 v17, v19                         // 00000000645C: 7E22B313
	s_nop 1                                                    // 000000006460: BF800001
	buffer_store_dwordx4 v[16:19], v181, s[4:7], 0 offen       // 000000006464: E07C1000 800110B5
	v_add_u32_e32 v181, s62, v181                              // 00000000646C: 696B6A3E
	v_accvgpr_read_b32 v8, a20                                 // 000000006470: D3D84008 18000114
	v_accvgpr_read_b32 v9, a21                                 // 000000006478: D3D84009 18000115
	v_accvgpr_read_b32 v10, a22                                // 000000006480: D3D8400A 18000116
	v_accvgpr_read_b32 v11, a23                                // 000000006488: D3D8400B 18000117
	v_accvgpr_read_b32 v12, a28                                // 000000006490: D3D8400C 1800011C
	v_accvgpr_read_b32 v13, a29                                // 000000006498: D3D8400D 1800011D
	v_accvgpr_read_b32 v14, a30                                // 0000000064A0: D3D8400E 1800011E
	v_accvgpr_read_b32 v15, a31                                // 0000000064A8: D3D8400F 1800011F
	v_cvt_pk_bf16_f32 v16, v8, v9                              // 0000000064B0: D2680010 00021308
	v_cvt_pk_bf16_f32 v17, v10, v11                            // 0000000064B8: D2680011 0002170A
	v_cvt_pk_bf16_f32 v18, v12, v13                            // 0000000064C0: D2680012 00021B0C
	v_cvt_pk_bf16_f32 v19, v14, v15                            // 0000000064C8: D2680013 00021F0E
	s_nop 1                                                    // 0000000064D0: BF800001
	v_permlane16_swap_b32_e32 v16, v18                         // 0000000064D4: 7E20B312
	s_nop 1                                                    // 0000000064D8: BF800001
	v_permlane16_swap_b32_e32 v17, v19                         // 0000000064DC: 7E22B313
	s_nop 1                                                    // 0000000064E0: BF800001
	buffer_store_dwordx4 v[16:19], v181, s[4:7], 0 offen       // 0000000064E4: E07C1000 800110B5
	v_add_u32_e32 v181, s62, v181                              // 0000000064EC: 696B6A3E
	v_accvgpr_read_b32 v8, a48                                 // 0000000064F0: D3D84008 18000130
	v_accvgpr_read_b32 v9, a49                                 // 0000000064F8: D3D84009 18000131
	v_accvgpr_read_b32 v10, a50                                // 000000006500: D3D8400A 18000132
	v_accvgpr_read_b32 v11, a51                                // 000000006508: D3D8400B 18000133
	v_accvgpr_read_b32 v12, a56                                // 000000006510: D3D8400C 18000138
	v_accvgpr_read_b32 v13, a57                                // 000000006518: D3D8400D 18000139
	v_accvgpr_read_b32 v14, a58                                // 000000006520: D3D8400E 1800013A
	v_accvgpr_read_b32 v15, a59                                // 000000006528: D3D8400F 1800013B
	v_cvt_pk_bf16_f32 v16, v8, v9                              // 000000006530: D2680010 00021308
	v_cvt_pk_bf16_f32 v17, v10, v11                            // 000000006538: D2680011 0002170A
	v_cvt_pk_bf16_f32 v18, v12, v13                            // 000000006540: D2680012 00021B0C
	v_cvt_pk_bf16_f32 v19, v14, v15                            // 000000006548: D2680013 00021F0E
	s_nop 1                                                    // 000000006550: BF800001
	v_permlane16_swap_b32_e32 v16, v18                         // 000000006554: 7E20B312
	s_nop 1                                                    // 000000006558: BF800001
	v_permlane16_swap_b32_e32 v17, v19                         // 00000000655C: 7E22B313
	s_nop 1                                                    // 000000006560: BF800001
	buffer_store_dwordx4 v[16:19], v181, s[4:7], 0 offen       // 000000006564: E07C1000 800110B5
	v_add_u32_e32 v181, s62, v181                              // 00000000656C: 696B6A3E
	v_accvgpr_read_b32 v8, a52                                 // 000000006570: D3D84008 18000134
	v_accvgpr_read_b32 v9, a53                                 // 000000006578: D3D84009 18000135
	v_accvgpr_read_b32 v10, a54                                // 000000006580: D3D8400A 18000136
	v_accvgpr_read_b32 v11, a55                                // 000000006588: D3D8400B 18000137
	v_accvgpr_read_b32 v12, a60                                // 000000006590: D3D8400C 1800013C
	v_accvgpr_read_b32 v13, a61                                // 000000006598: D3D8400D 1800013D
	v_accvgpr_read_b32 v14, a62                                // 0000000065A0: D3D8400E 1800013E
	v_accvgpr_read_b32 v15, a63                                // 0000000065A8: D3D8400F 1800013F
	v_cvt_pk_bf16_f32 v16, v8, v9                              // 0000000065B0: D2680010 00021308
	v_cvt_pk_bf16_f32 v17, v10, v11                            // 0000000065B8: D2680011 0002170A
	v_cvt_pk_bf16_f32 v18, v12, v13                            // 0000000065C0: D2680012 00021B0C
	v_cvt_pk_bf16_f32 v19, v14, v15                            // 0000000065C8: D2680013 00021F0E
	s_nop 1                                                    // 0000000065D0: BF800001
	v_permlane16_swap_b32_e32 v16, v18                         // 0000000065D4: 7E20B312
	s_nop 1                                                    // 0000000065D8: BF800001
	v_permlane16_swap_b32_e32 v17, v19                         // 0000000065DC: 7E22B313
	s_nop 1                                                    // 0000000065E0: BF800001
	buffer_store_dwordx4 v[16:19], v181, s[4:7], 0 offen       // 0000000065E4: E07C1000 800110B5
	v_add_u32_e32 v181, s62, v181                              // 0000000065EC: 696B6A3E
	v_accvgpr_read_b32 v8, a80                                 // 0000000065F0: D3D84008 18000150
	v_accvgpr_read_b32 v9, a81                                 // 0000000065F8: D3D84009 18000151
	v_accvgpr_read_b32 v10, a82                                // 000000006600: D3D8400A 18000152
	v_accvgpr_read_b32 v11, a83                                // 000000006608: D3D8400B 18000153
	v_accvgpr_read_b32 v12, a88                                // 000000006610: D3D8400C 18000158
	v_accvgpr_read_b32 v13, a89                                // 000000006618: D3D8400D 18000159
	v_accvgpr_read_b32 v14, a90                                // 000000006620: D3D8400E 1800015A
	v_accvgpr_read_b32 v15, a91                                // 000000006628: D3D8400F 1800015B
	v_cvt_pk_bf16_f32 v16, v8, v9                              // 000000006630: D2680010 00021308
	v_cvt_pk_bf16_f32 v17, v10, v11                            // 000000006638: D2680011 0002170A
	v_cvt_pk_bf16_f32 v18, v12, v13                            // 000000006640: D2680012 00021B0C
	v_cvt_pk_bf16_f32 v19, v14, v15                            // 000000006648: D2680013 00021F0E
	s_nop 1                                                    // 000000006650: BF800001
	v_permlane16_swap_b32_e32 v16, v18                         // 000000006654: 7E20B312
	s_nop 1                                                    // 000000006658: BF800001
	v_permlane16_swap_b32_e32 v17, v19                         // 00000000665C: 7E22B313
	s_nop 1                                                    // 000000006660: BF800001
	buffer_store_dwordx4 v[16:19], v181, s[4:7], 0 offen       // 000000006664: E07C1000 800110B5
	v_add_u32_e32 v181, s62, v181                              // 00000000666C: 696B6A3E
	v_accvgpr_read_b32 v8, a84                                 // 000000006670: D3D84008 18000154
	v_accvgpr_read_b32 v9, a85                                 // 000000006678: D3D84009 18000155
	v_accvgpr_read_b32 v10, a86                                // 000000006680: D3D8400A 18000156
	v_accvgpr_read_b32 v11, a87                                // 000000006688: D3D8400B 18000157
	v_accvgpr_read_b32 v12, a92                                // 000000006690: D3D8400C 1800015C
	v_accvgpr_read_b32 v13, a93                                // 000000006698: D3D8400D 1800015D
	v_accvgpr_read_b32 v14, a94                                // 0000000066A0: D3D8400E 1800015E
	v_accvgpr_read_b32 v15, a95                                // 0000000066A8: D3D8400F 1800015F
	v_cvt_pk_bf16_f32 v16, v8, v9                              // 0000000066B0: D2680010 00021308
	v_cvt_pk_bf16_f32 v17, v10, v11                            // 0000000066B8: D2680011 0002170A
	v_cvt_pk_bf16_f32 v18, v12, v13                            // 0000000066C0: D2680012 00021B0C
	v_cvt_pk_bf16_f32 v19, v14, v15                            // 0000000066C8: D2680013 00021F0E
	s_nop 1                                                    // 0000000066D0: BF800001
	v_permlane16_swap_b32_e32 v16, v18                         // 0000000066D4: 7E20B312
	s_nop 1                                                    // 0000000066D8: BF800001
	v_permlane16_swap_b32_e32 v17, v19                         // 0000000066DC: 7E22B313
	s_nop 1                                                    // 0000000066E0: BF800001
	buffer_store_dwordx4 v[16:19], v181, s[4:7], 0 offen       // 0000000066E4: E07C1000 800110B5
	v_add_u32_e32 v181, s62, v181                              // 0000000066EC: 696B6A3E
	v_accvgpr_read_b32 v8, a112                                // 0000000066F0: D3D84008 18000170
	v_accvgpr_read_b32 v9, a113                                // 0000000066F8: D3D84009 18000171
	v_accvgpr_read_b32 v10, a114                               // 000000006700: D3D8400A 18000172
	v_accvgpr_read_b32 v11, a115                               // 000000006708: D3D8400B 18000173
	v_accvgpr_read_b32 v12, a120                               // 000000006710: D3D8400C 18000178
	v_accvgpr_read_b32 v13, a121                               // 000000006718: D3D8400D 18000179
	v_accvgpr_read_b32 v14, a122                               // 000000006720: D3D8400E 1800017A
	v_accvgpr_read_b32 v15, a123                               // 000000006728: D3D8400F 1800017B
	v_cvt_pk_bf16_f32 v16, v8, v9                              // 000000006730: D2680010 00021308
	v_cvt_pk_bf16_f32 v17, v10, v11                            // 000000006738: D2680011 0002170A
	v_cvt_pk_bf16_f32 v18, v12, v13                            // 000000006740: D2680012 00021B0C
	v_cvt_pk_bf16_f32 v19, v14, v15                            // 000000006748: D2680013 00021F0E
	s_nop 1                                                    // 000000006750: BF800001
	v_permlane16_swap_b32_e32 v16, v18                         // 000000006754: 7E20B312
	s_nop 1                                                    // 000000006758: BF800001
	v_permlane16_swap_b32_e32 v17, v19                         // 00000000675C: 7E22B313
	s_nop 1                                                    // 000000006760: BF800001
	buffer_store_dwordx4 v[16:19], v181, s[4:7], 0 offen       // 000000006764: E07C1000 800110B5
	v_add_u32_e32 v181, s62, v181                              // 00000000676C: 696B6A3E
	v_accvgpr_read_b32 v8, a116                                // 000000006770: D3D84008 18000174
	v_accvgpr_read_b32 v9, a117                                // 000000006778: D3D84009 18000175
	v_accvgpr_read_b32 v10, a118                               // 000000006780: D3D8400A 18000176
	v_accvgpr_read_b32 v11, a119                               // 000000006788: D3D8400B 18000177
	v_accvgpr_read_b32 v12, a124                               // 000000006790: D3D8400C 1800017C
	v_accvgpr_read_b32 v13, a125                               // 000000006798: D3D8400D 1800017D
	v_accvgpr_read_b32 v14, a126                               // 0000000067A0: D3D8400E 1800017E
	v_accvgpr_read_b32 v15, a127                               // 0000000067A8: D3D8400F 1800017F
	v_cvt_pk_bf16_f32 v16, v8, v9                              // 0000000067B0: D2680010 00021308
	v_cvt_pk_bf16_f32 v17, v10, v11                            // 0000000067B8: D2680011 0002170A
	v_cvt_pk_bf16_f32 v18, v12, v13                            // 0000000067C0: D2680012 00021B0C
	v_cvt_pk_bf16_f32 v19, v14, v15                            // 0000000067C8: D2680013 00021F0E
	s_nop 1                                                    // 0000000067D0: BF800001
	v_permlane16_swap_b32_e32 v16, v18                         // 0000000067D4: 7E20B312
	s_nop 1                                                    // 0000000067D8: BF800001
	v_permlane16_swap_b32_e32 v17, v19                         // 0000000067DC: 7E22B313
	s_nop 1                                                    // 0000000067E0: BF800001
	buffer_store_dwordx4 v[16:19], v181, s[4:7], 0 offen       // 0000000067E4: E07C1000 800110B5
	v_add_u32_e32 v181, s62, v181                              // 0000000067EC: 696B6A3E
	v_accvgpr_read_b32 v8, a144                                // 0000000067F0: D3D84008 18000190
	v_accvgpr_read_b32 v9, a145                                // 0000000067F8: D3D84009 18000191
	v_accvgpr_read_b32 v10, a146                               // 000000006800: D3D8400A 18000192
	v_accvgpr_read_b32 v11, a147                               // 000000006808: D3D8400B 18000193
	v_accvgpr_read_b32 v12, a152                               // 000000006810: D3D8400C 18000198
	v_accvgpr_read_b32 v13, a153                               // 000000006818: D3D8400D 18000199
	v_accvgpr_read_b32 v14, a154                               // 000000006820: D3D8400E 1800019A
	v_accvgpr_read_b32 v15, a155                               // 000000006828: D3D8400F 1800019B
	v_cvt_pk_bf16_f32 v16, v8, v9                              // 000000006830: D2680010 00021308
	v_cvt_pk_bf16_f32 v17, v10, v11                            // 000000006838: D2680011 0002170A
	v_cvt_pk_bf16_f32 v18, v12, v13                            // 000000006840: D2680012 00021B0C
	v_cvt_pk_bf16_f32 v19, v14, v15                            // 000000006848: D2680013 00021F0E
	s_nop 1                                                    // 000000006850: BF800001
	v_permlane16_swap_b32_e32 v16, v18                         // 000000006854: 7E20B312
	s_nop 1                                                    // 000000006858: BF800001
	v_permlane16_swap_b32_e32 v17, v19                         // 00000000685C: 7E22B313
	s_nop 1                                                    // 000000006860: BF800001
	buffer_store_dwordx4 v[16:19], v181, s[4:7], 0 offen       // 000000006864: E07C1000 800110B5
	v_add_u32_e32 v181, s62, v181                              // 00000000686C: 696B6A3E
	v_accvgpr_read_b32 v8, a148                                // 000000006870: D3D84008 18000194
	v_accvgpr_read_b32 v9, a149                                // 000000006878: D3D84009 18000195
	v_accvgpr_read_b32 v10, a150                               // 000000006880: D3D8400A 18000196
	v_accvgpr_read_b32 v11, a151                               // 000000006888: D3D8400B 18000197
	v_accvgpr_read_b32 v12, a156                               // 000000006890: D3D8400C 1800019C
	v_accvgpr_read_b32 v13, a157                               // 000000006898: D3D8400D 1800019D
	v_accvgpr_read_b32 v14, a158                               // 0000000068A0: D3D8400E 1800019E
	v_accvgpr_read_b32 v15, a159                               // 0000000068A8: D3D8400F 1800019F
	v_cvt_pk_bf16_f32 v16, v8, v9                              // 0000000068B0: D2680010 00021308
	v_cvt_pk_bf16_f32 v17, v10, v11                            // 0000000068B8: D2680011 0002170A
	v_cvt_pk_bf16_f32 v18, v12, v13                            // 0000000068C0: D2680012 00021B0C
	v_cvt_pk_bf16_f32 v19, v14, v15                            // 0000000068C8: D2680013 00021F0E
	s_nop 1                                                    // 0000000068D0: BF800001
	v_permlane16_swap_b32_e32 v16, v18                         // 0000000068D4: 7E20B312
	s_nop 1                                                    // 0000000068D8: BF800001
	v_permlane16_swap_b32_e32 v17, v19                         // 0000000068DC: 7E22B313
	s_nop 1                                                    // 0000000068E0: BF800001
	buffer_store_dwordx4 v[16:19], v181, s[4:7], 0 offen       // 0000000068E4: E07C1000 800110B5
	v_add_u32_e32 v181, s62, v181                              // 0000000068EC: 696B6A3E

00000000000068f0 <label_0F3C>:
	s_waitcnt vmcnt(0) expcnt(0) lgkmcnt(0)                    // 0000000068F0: BF8C0000
	s_endpgm                                                   // 0000000068F4: BF810000
